;; amdgpu-corpus repo=ROCm/rocFFT kind=compiled arch=gfx1030 opt=O3
	.text
	.amdgcn_target "amdgcn-amd-amdhsa--gfx1030"
	.amdhsa_code_object_version 6
	.protected	fft_rtc_fwd_len1782_factors_11_3_3_3_3_2_wgs_99_tpt_99_halfLds_sp_ip_CI_sbrr_dirReg ; -- Begin function fft_rtc_fwd_len1782_factors_11_3_3_3_3_2_wgs_99_tpt_99_halfLds_sp_ip_CI_sbrr_dirReg
	.globl	fft_rtc_fwd_len1782_factors_11_3_3_3_3_2_wgs_99_tpt_99_halfLds_sp_ip_CI_sbrr_dirReg
	.p2align	8
	.type	fft_rtc_fwd_len1782_factors_11_3_3_3_3_2_wgs_99_tpt_99_halfLds_sp_ip_CI_sbrr_dirReg,@function
fft_rtc_fwd_len1782_factors_11_3_3_3_3_2_wgs_99_tpt_99_halfLds_sp_ip_CI_sbrr_dirReg: ; @fft_rtc_fwd_len1782_factors_11_3_3_3_3_2_wgs_99_tpt_99_halfLds_sp_ip_CI_sbrr_dirReg
; %bb.0:
	s_clause 0x2
	s_load_dwordx2 s[14:15], s[4:5], 0x18
	s_load_dwordx4 s[8:11], s[4:5], 0x0
	s_load_dwordx2 s[12:13], s[4:5], 0x50
	v_mul_u32_u24_e32 v1, 0x296, v0
	v_mov_b32_e32 v3, 0
	v_add_nc_u32_sdwa v5, s6, v1 dst_sel:DWORD dst_unused:UNUSED_PAD src0_sel:DWORD src1_sel:WORD_1
	v_mov_b32_e32 v1, 0
	v_mov_b32_e32 v6, v3
	v_mov_b32_e32 v2, 0
	s_waitcnt lgkmcnt(0)
	s_load_dwordx2 s[2:3], s[14:15], 0x0
	v_cmp_lt_u64_e64 s0, s[10:11], 2
	s_and_b32 vcc_lo, exec_lo, s0
	s_cbranch_vccnz .LBB0_8
; %bb.1:
	s_load_dwordx2 s[0:1], s[4:5], 0x10
	v_mov_b32_e32 v1, 0
	s_add_u32 s6, s14, 8
	v_mov_b32_e32 v2, 0
	s_addc_u32 s7, s15, 0
	s_mov_b64 s[18:19], 1
	s_waitcnt lgkmcnt(0)
	s_add_u32 s16, s0, 8
	s_addc_u32 s17, s1, 0
.LBB0_2:                                ; =>This Inner Loop Header: Depth=1
	s_load_dwordx2 s[20:21], s[16:17], 0x0
                                        ; implicit-def: $vgpr7_vgpr8
	s_mov_b32 s0, exec_lo
	s_waitcnt lgkmcnt(0)
	v_or_b32_e32 v4, s21, v6
	v_cmpx_ne_u64_e32 0, v[3:4]
	s_xor_b32 s1, exec_lo, s0
	s_cbranch_execz .LBB0_4
; %bb.3:                                ;   in Loop: Header=BB0_2 Depth=1
	v_cvt_f32_u32_e32 v4, s20
	v_cvt_f32_u32_e32 v7, s21
	s_sub_u32 s0, 0, s20
	s_subb_u32 s22, 0, s21
	v_fmac_f32_e32 v4, 0x4f800000, v7
	v_rcp_f32_e32 v4, v4
	v_mul_f32_e32 v4, 0x5f7ffffc, v4
	v_mul_f32_e32 v7, 0x2f800000, v4
	v_trunc_f32_e32 v7, v7
	v_fmac_f32_e32 v4, 0xcf800000, v7
	v_cvt_u32_f32_e32 v7, v7
	v_cvt_u32_f32_e32 v4, v4
	v_mul_lo_u32 v8, s0, v7
	v_mul_hi_u32 v9, s0, v4
	v_mul_lo_u32 v10, s22, v4
	v_add_nc_u32_e32 v8, v9, v8
	v_mul_lo_u32 v9, s0, v4
	v_add_nc_u32_e32 v8, v8, v10
	v_mul_hi_u32 v10, v4, v9
	v_mul_lo_u32 v11, v4, v8
	v_mul_hi_u32 v12, v4, v8
	v_mul_hi_u32 v13, v7, v9
	v_mul_lo_u32 v9, v7, v9
	v_mul_hi_u32 v14, v7, v8
	v_mul_lo_u32 v8, v7, v8
	v_add_co_u32 v10, vcc_lo, v10, v11
	v_add_co_ci_u32_e32 v11, vcc_lo, 0, v12, vcc_lo
	v_add_co_u32 v9, vcc_lo, v10, v9
	v_add_co_ci_u32_e32 v9, vcc_lo, v11, v13, vcc_lo
	v_add_co_ci_u32_e32 v10, vcc_lo, 0, v14, vcc_lo
	v_add_co_u32 v8, vcc_lo, v9, v8
	v_add_co_ci_u32_e32 v9, vcc_lo, 0, v10, vcc_lo
	v_add_co_u32 v4, vcc_lo, v4, v8
	v_add_co_ci_u32_e32 v7, vcc_lo, v7, v9, vcc_lo
	v_mul_hi_u32 v8, s0, v4
	v_mul_lo_u32 v10, s22, v4
	v_mul_lo_u32 v9, s0, v7
	v_add_nc_u32_e32 v8, v8, v9
	v_mul_lo_u32 v9, s0, v4
	v_add_nc_u32_e32 v8, v8, v10
	v_mul_hi_u32 v10, v4, v9
	v_mul_lo_u32 v11, v4, v8
	v_mul_hi_u32 v12, v4, v8
	v_mul_hi_u32 v13, v7, v9
	v_mul_lo_u32 v9, v7, v9
	v_mul_hi_u32 v14, v7, v8
	v_mul_lo_u32 v8, v7, v8
	v_add_co_u32 v10, vcc_lo, v10, v11
	v_add_co_ci_u32_e32 v11, vcc_lo, 0, v12, vcc_lo
	v_add_co_u32 v9, vcc_lo, v10, v9
	v_add_co_ci_u32_e32 v9, vcc_lo, v11, v13, vcc_lo
	v_add_co_ci_u32_e32 v10, vcc_lo, 0, v14, vcc_lo
	v_add_co_u32 v8, vcc_lo, v9, v8
	v_add_co_ci_u32_e32 v9, vcc_lo, 0, v10, vcc_lo
	v_add_co_u32 v4, vcc_lo, v4, v8
	v_add_co_ci_u32_e32 v11, vcc_lo, v7, v9, vcc_lo
	v_mul_hi_u32 v13, v5, v4
	v_mad_u64_u32 v[9:10], null, v6, v4, 0
	v_mad_u64_u32 v[7:8], null, v5, v11, 0
	;; [unrolled: 1-line block ×3, first 2 shown]
	v_add_co_u32 v4, vcc_lo, v13, v7
	v_add_co_ci_u32_e32 v7, vcc_lo, 0, v8, vcc_lo
	v_add_co_u32 v4, vcc_lo, v4, v9
	v_add_co_ci_u32_e32 v4, vcc_lo, v7, v10, vcc_lo
	v_add_co_ci_u32_e32 v7, vcc_lo, 0, v12, vcc_lo
	v_add_co_u32 v4, vcc_lo, v4, v11
	v_add_co_ci_u32_e32 v9, vcc_lo, 0, v7, vcc_lo
	v_mul_lo_u32 v10, s21, v4
	v_mad_u64_u32 v[7:8], null, s20, v4, 0
	v_mul_lo_u32 v11, s20, v9
	v_sub_co_u32 v7, vcc_lo, v5, v7
	v_add3_u32 v8, v8, v11, v10
	v_sub_nc_u32_e32 v10, v6, v8
	v_subrev_co_ci_u32_e64 v10, s0, s21, v10, vcc_lo
	v_add_co_u32 v11, s0, v4, 2
	v_add_co_ci_u32_e64 v12, s0, 0, v9, s0
	v_sub_co_u32 v13, s0, v7, s20
	v_sub_co_ci_u32_e32 v8, vcc_lo, v6, v8, vcc_lo
	v_subrev_co_ci_u32_e64 v10, s0, 0, v10, s0
	v_cmp_le_u32_e32 vcc_lo, s20, v13
	v_cmp_eq_u32_e64 s0, s21, v8
	v_cndmask_b32_e64 v13, 0, -1, vcc_lo
	v_cmp_le_u32_e32 vcc_lo, s21, v10
	v_cndmask_b32_e64 v14, 0, -1, vcc_lo
	v_cmp_le_u32_e32 vcc_lo, s20, v7
	;; [unrolled: 2-line block ×3, first 2 shown]
	v_cndmask_b32_e64 v15, 0, -1, vcc_lo
	v_cmp_eq_u32_e32 vcc_lo, s21, v10
	v_cndmask_b32_e64 v7, v15, v7, s0
	v_cndmask_b32_e32 v10, v14, v13, vcc_lo
	v_add_co_u32 v13, vcc_lo, v4, 1
	v_add_co_ci_u32_e32 v14, vcc_lo, 0, v9, vcc_lo
	v_cmp_ne_u32_e32 vcc_lo, 0, v10
	v_cndmask_b32_e32 v8, v14, v12, vcc_lo
	v_cndmask_b32_e32 v10, v13, v11, vcc_lo
	v_cmp_ne_u32_e32 vcc_lo, 0, v7
	v_cndmask_b32_e32 v8, v9, v8, vcc_lo
	v_cndmask_b32_e32 v7, v4, v10, vcc_lo
.LBB0_4:                                ;   in Loop: Header=BB0_2 Depth=1
	s_andn2_saveexec_b32 s0, s1
	s_cbranch_execz .LBB0_6
; %bb.5:                                ;   in Loop: Header=BB0_2 Depth=1
	v_cvt_f32_u32_e32 v4, s20
	s_sub_i32 s1, 0, s20
	v_rcp_iflag_f32_e32 v4, v4
	v_mul_f32_e32 v4, 0x4f7ffffe, v4
	v_cvt_u32_f32_e32 v4, v4
	v_mul_lo_u32 v7, s1, v4
	v_mul_hi_u32 v7, v4, v7
	v_add_nc_u32_e32 v4, v4, v7
	v_mul_hi_u32 v4, v5, v4
	v_mul_lo_u32 v7, v4, s20
	v_add_nc_u32_e32 v8, 1, v4
	v_sub_nc_u32_e32 v7, v5, v7
	v_subrev_nc_u32_e32 v9, s20, v7
	v_cmp_le_u32_e32 vcc_lo, s20, v7
	v_cndmask_b32_e32 v7, v7, v9, vcc_lo
	v_cndmask_b32_e32 v4, v4, v8, vcc_lo
	v_cmp_le_u32_e32 vcc_lo, s20, v7
	v_add_nc_u32_e32 v8, 1, v4
	v_cndmask_b32_e32 v7, v4, v8, vcc_lo
	v_mov_b32_e32 v8, v3
.LBB0_6:                                ;   in Loop: Header=BB0_2 Depth=1
	s_or_b32 exec_lo, exec_lo, s0
	s_load_dwordx2 s[0:1], s[6:7], 0x0
	v_mul_lo_u32 v4, v8, s20
	v_mul_lo_u32 v11, v7, s21
	v_mad_u64_u32 v[9:10], null, v7, s20, 0
	s_add_u32 s18, s18, 1
	s_addc_u32 s19, s19, 0
	s_add_u32 s6, s6, 8
	s_addc_u32 s7, s7, 0
	;; [unrolled: 2-line block ×3, first 2 shown]
	v_add3_u32 v4, v10, v11, v4
	v_sub_co_u32 v5, vcc_lo, v5, v9
	v_sub_co_ci_u32_e32 v4, vcc_lo, v6, v4, vcc_lo
	s_waitcnt lgkmcnt(0)
	v_mul_lo_u32 v6, s1, v5
	v_mul_lo_u32 v4, s0, v4
	v_mad_u64_u32 v[1:2], null, s0, v5, v[1:2]
	v_cmp_ge_u64_e64 s0, s[18:19], s[10:11]
	s_and_b32 vcc_lo, exec_lo, s0
	v_add3_u32 v2, v6, v2, v4
	s_cbranch_vccnz .LBB0_9
; %bb.7:                                ;   in Loop: Header=BB0_2 Depth=1
	v_mov_b32_e32 v5, v7
	v_mov_b32_e32 v6, v8
	s_branch .LBB0_2
.LBB0_8:
	v_mov_b32_e32 v8, v6
	v_mov_b32_e32 v7, v5
.LBB0_9:
	s_lshl_b64 s[0:1], s[10:11], 3
	v_mul_hi_u32 v3, 0x295fad5, v0
	s_add_u32 s0, s14, s0
	s_addc_u32 s1, s15, s1
                                        ; implicit-def: $vgpr23
                                        ; implicit-def: $vgpr43
                                        ; implicit-def: $vgpr33
                                        ; implicit-def: $vgpr17
                                        ; implicit-def: $vgpr27
                                        ; implicit-def: $vgpr13
                                        ; implicit-def: $vgpr15
                                        ; implicit-def: $vgpr41
                                        ; implicit-def: $vgpr45
                                        ; implicit-def: $vgpr29
                                        ; implicit-def: $vgpr25
                                        ; implicit-def: $vgpr19
                                        ; implicit-def: $vgpr9
                                        ; implicit-def: $vgpr37
                                        ; implicit-def: $vgpr39
                                        ; implicit-def: $vgpr31
                                        ; implicit-def: $vgpr21
                                        ; implicit-def: $vgpr11
                                        ; implicit-def: $vgpr47
                                        ; implicit-def: $vgpr35
	s_load_dwordx2 s[0:1], s[0:1], 0x0
	s_load_dwordx2 s[4:5], s[4:5], 0x20
	v_mul_u32_u24_e32 v3, 0x63, v3
	v_sub_nc_u32_e32 v0, v0, v3
	s_waitcnt lgkmcnt(0)
	v_mul_lo_u32 v4, s0, v8
	v_mul_lo_u32 v5, s1, v7
	v_mad_u64_u32 v[1:2], null, s0, v7, v[1:2]
	v_cmp_gt_u64_e32 vcc_lo, s[4:5], v[7:8]
                                        ; implicit-def: $vgpr7
	v_add3_u32 v2, v5, v2, v4
	v_mov_b32_e32 v5, 0
	v_mov_b32_e32 v4, 0
	v_lshlrev_b64 v[2:3], 3, v[1:2]
	s_and_saveexec_b32 s1, vcc_lo
	s_cbranch_execz .LBB0_13
; %bb.10:
	v_add_nc_u32_e32 v9, 0xa2, v0
	v_mad_u64_u32 v[4:5], null, s2, v0, 0
	v_add_nc_u32_e32 v14, 0x144, v0
	v_add_nc_u32_e32 v16, 0x1e6, v0
	v_mad_u64_u32 v[6:7], null, s2, v9, 0
	v_add_nc_u32_e32 v17, 0x288, v0
	v_mad_u64_u32 v[10:11], null, s2, v14, 0
	v_mov_b32_e32 v1, v5
	v_mad_u64_u32 v[12:13], null, s2, v16, 0
	v_mov_b32_e32 v5, v7
	v_add_nc_u32_e32 v20, 0x32a, v0
	v_mad_u64_u32 v[7:8], null, s3, v0, v[1:2]
	v_add_co_u32 v1, s0, s12, v2
	v_mad_u64_u32 v[8:9], null, s3, v9, v[5:6]
	v_mad_u64_u32 v[14:15], null, s3, v14, v[11:12]
	v_mov_b32_e32 v5, v7
	v_add_co_ci_u32_e64 v9, s0, s13, v3, s0
	v_mad_u64_u32 v[18:19], null, s2, v20, 0
	v_mov_b32_e32 v7, v8
	v_mov_b32_e32 v8, v13
	;; [unrolled: 1-line block ×3, first 2 shown]
	v_lshlrev_b64 v[4:5], 3, v[4:5]
	v_add_nc_u32_e32 v24, 0x3cc, v0
	v_lshlrev_b64 v[6:7], 3, v[6:7]
	v_mad_u64_u32 v[13:14], null, s3, v16, v[8:9]
	v_mad_u64_u32 v[14:15], null, s2, v17, 0
	v_add_co_u32 v4, s0, v1, v4
	v_lshlrev_b64 v[10:11], 3, v[10:11]
	v_add_co_ci_u32_e64 v5, s0, v9, v5, s0
	v_add_co_u32 v6, s0, v1, v6
	v_mov_b32_e32 v8, v15
	v_lshlrev_b64 v[12:13], 3, v[12:13]
	v_add_co_ci_u32_e64 v7, s0, v9, v7, s0
	v_add_co_u32 v10, s0, v1, v10
	v_mad_u64_u32 v[15:16], null, s3, v17, v[8:9]
	v_mov_b32_e32 v8, v19
	v_add_co_ci_u32_e64 v11, s0, v9, v11, s0
	v_add_co_u32 v12, s0, v1, v12
	v_add_co_ci_u32_e64 v13, s0, v9, v13, s0
	v_mad_u64_u32 v[19:20], null, s3, v20, v[8:9]
	v_mad_u64_u32 v[20:21], null, s2, v24, 0
	s_clause 0x3
	global_load_dwordx2 v[22:23], v[4:5], off
	global_load_dwordx2 v[42:43], v[6:7], off
	global_load_dwordx2 v[32:33], v[10:11], off
	global_load_dwordx2 v[16:17], v[12:13], off
	v_lshlrev_b64 v[4:5], 3, v[14:15]
	v_add_nc_u32_e32 v15, 0x46e, v0
	v_add_nc_u32_e32 v26, 0x510, v0
	v_lshlrev_b64 v[13:14], 3, v[18:19]
	s_mov_b32 s4, exec_lo
	v_mov_b32_e32 v6, v21
	v_mad_u64_u32 v[7:8], null, s2, v15, 0
	v_add_co_u32 v4, s0, v1, v4
	v_add_co_ci_u32_e64 v5, s0, v9, v5, s0
	v_add_co_u32 v13, s0, v1, v13
	v_mad_u64_u32 v[10:11], null, s3, v24, v[6:7]
	v_mad_u64_u32 v[11:12], null, s2, v26, 0
	v_mov_b32_e32 v6, v8
	v_add_co_ci_u32_e64 v14, s0, v9, v14, s0
                                        ; implicit-def: $vgpr30
                                        ; implicit-def: $vgpr38
                                        ; implicit-def: $vgpr36
	v_mov_b32_e32 v21, v10
	v_add_nc_u32_e32 v10, 0x5b2, v0
	v_mad_u64_u32 v[18:19], null, s3, v15, v[6:7]
	v_mov_b32_e32 v6, v12
	v_add_nc_u32_e32 v15, 0x654, v0
	v_mad_u64_u32 v[24:25], null, s2, v10, 0
	v_lshlrev_b64 v[19:20], 3, v[20:21]
	v_mad_u64_u32 v[26:27], null, s3, v26, v[6:7]
	v_mad_u64_u32 v[27:28], null, s2, v15, 0
	v_mov_b32_e32 v8, v18
	v_mov_b32_e32 v6, v25
	v_add_co_u32 v18, s0, v1, v19
	v_mov_b32_e32 v12, v26
	v_add_co_ci_u32_e64 v19, s0, v9, v20, s0
	v_mad_u64_u32 v[25:26], null, s3, v10, v[6:7]
	v_lshlrev_b64 v[7:8], 3, v[7:8]
	v_mov_b32_e32 v6, v28
	v_lshlrev_b64 v[10:11], 3, v[11:12]
	v_mad_u64_u32 v[20:21], null, s3, v15, v[6:7]
	v_add_co_u32 v6, s0, v1, v7
	v_lshlrev_b64 v[24:25], 3, v[24:25]
	v_add_co_ci_u32_e64 v7, s0, v9, v8, s0
	v_add_co_u32 v10, s0, v1, v10
	v_mov_b32_e32 v28, v20
	v_add_co_ci_u32_e64 v11, s0, v9, v11, s0
	v_add_co_u32 v24, s0, v1, v24
	v_lshlrev_b64 v[20:21], 3, v[27:28]
	v_add_co_ci_u32_e64 v25, s0, v9, v25, s0
                                        ; implicit-def: $vgpr8
                                        ; implicit-def: $vgpr28
	v_add_co_u32 v20, s0, v1, v20
	v_add_co_ci_u32_e64 v21, s0, v9, v21, s0
	s_clause 0x6
	global_load_dwordx2 v[26:27], v[4:5], off
	global_load_dwordx2 v[12:13], v[13:14], off
	;; [unrolled: 1-line block ×7, first 2 shown]
	v_mov_b32_e32 v4, 0
	v_mov_b32_e32 v5, 0
                                        ; implicit-def: $vgpr10
                                        ; implicit-def: $vgpr20
                                        ; implicit-def: $vgpr18
                                        ; implicit-def: $vgpr6
                                        ; implicit-def: $vgpr24
	v_cmpx_gt_u32_e32 63, v0
	s_cbranch_execz .LBB0_12
; %bb.11:
	v_add_nc_u32_e32 v8, 0x63, v0
	v_add_nc_u32_e32 v21, 0x105, v0
	;; [unrolled: 1-line block ×5, first 2 shown]
	v_mad_u64_u32 v[4:5], null, s2, v8, 0
	v_mad_u64_u32 v[6:7], null, s2, v21, 0
	;; [unrolled: 1-line block ×4, first 2 shown]
	v_add_nc_u32_e32 v48, 0x42f, v0
	v_add_nc_u32_e32 v49, 0x4d1, v0
	v_mad_u64_u32 v[18:19], null, s3, v8, v[5:6]
	v_mov_b32_e32 v5, v11
	v_mad_u64_u32 v[19:20], null, s2, v28, 0
	v_mad_u64_u32 v[7:8], null, s3, v21, v[7:8]
	;; [unrolled: 1-line block ×3, first 2 shown]
	v_mov_b32_e32 v5, v18
	v_mad_u64_u32 v[38:39], null, s2, v48, 0
	v_mov_b32_e32 v8, v20
	v_lshlrev_b64 v[6:7], 3, v[6:7]
	v_lshlrev_b64 v[4:5], 3, v[4:5]
	v_mov_b32_e32 v11, v24
	v_add_nc_u32_e32 v24, 0x38d, v0
	v_mad_u64_u32 v[20:21], null, s3, v28, v[8:9]
	v_mov_b32_e32 v8, v31
	v_add_co_u32 v4, s0, v1, v4
	v_mad_u64_u32 v[36:37], null, s2, v24, 0
	v_lshlrev_b64 v[10:11], 3, v[10:11]
	v_add_co_ci_u32_e64 v5, s0, v9, v5, s0
	v_lshlrev_b64 v[18:19], 3, v[19:20]
	v_mad_u64_u32 v[20:21], null, s3, v29, v[8:9]
	v_add_co_u32 v6, s0, v1, v6
	v_add_co_ci_u32_e64 v7, s0, v9, v7, s0
	v_mov_b32_e32 v8, v37
	v_add_co_u32 v10, s0, v1, v10
	v_add_co_ci_u32_e64 v11, s0, v9, v11, s0
	v_add_co_u32 v18, s0, v1, v18
	v_mov_b32_e32 v31, v20
	v_mad_u64_u32 v[20:21], null, s3, v24, v[8:9]
	v_add_co_ci_u32_e64 v19, s0, v9, v19, s0
	s_clause 0x3
	global_load_dwordx2 v[4:5], v[4:5], off
	global_load_dwordx2 v[28:29], v[6:7], off
	;; [unrolled: 1-line block ×4, first 2 shown]
	v_mov_b32_e32 v8, v39
	v_add_nc_u32_e32 v50, 0x573, v0
	v_mad_u64_u32 v[18:19], null, s2, v49, 0
	v_lshlrev_b64 v[10:11], 3, v[30:31]
	v_mov_b32_e32 v37, v20
	v_mad_u64_u32 v[20:21], null, s3, v48, v[8:9]
	v_mad_u64_u32 v[30:31], null, s2, v50, 0
	v_mov_b32_e32 v8, v19
	v_add_nc_u32_e32 v51, 0x615, v0
	v_add_nc_u32_e32 v53, 0x6b7, v0
	v_lshlrev_b64 v[36:37], 3, v[36:37]
	v_mov_b32_e32 v39, v20
	v_mad_u64_u32 v[19:20], null, s3, v49, v[8:9]
	v_mov_b32_e32 v8, v31
	v_mad_u64_u32 v[20:21], null, s2, v51, 0
	v_add_co_u32 v10, s0, v1, v10
	v_mad_u64_u32 v[48:49], null, s3, v50, v[8:9]
	v_mad_u64_u32 v[49:50], null, s2, v53, 0
	v_mov_b32_e32 v8, v21
	v_lshlrev_b64 v[38:39], 3, v[38:39]
	v_add_co_ci_u32_e64 v11, s0, v9, v11, s0
	v_add_co_u32 v36, s0, v1, v36
	v_mad_u64_u32 v[51:52], null, s3, v51, v[8:9]
	v_mov_b32_e32 v8, v50
	v_mov_b32_e32 v31, v48
	v_lshlrev_b64 v[18:19], 3, v[18:19]
	v_add_co_ci_u32_e64 v37, s0, v9, v37, s0
	v_mad_u64_u32 v[52:53], null, s3, v53, v[8:9]
	v_add_co_u32 v38, s0, v1, v38
	v_mov_b32_e32 v21, v51
	v_add_co_ci_u32_e64 v39, s0, v9, v39, s0
	v_lshlrev_b64 v[30:31], 3, v[30:31]
	v_add_co_u32 v53, s0, v1, v18
	v_mov_b32_e32 v50, v52
	v_add_co_ci_u32_e64 v54, s0, v9, v19, s0
	v_lshlrev_b64 v[18:19], 3, v[20:21]
	v_add_co_u32 v30, s0, v1, v30
	v_lshlrev_b64 v[20:21], 3, v[49:50]
	v_add_co_ci_u32_e64 v31, s0, v9, v31, s0
	v_add_co_u32 v48, s0, v1, v18
	v_add_co_ci_u32_e64 v49, s0, v9, v19, s0
	v_add_co_u32 v50, s0, v1, v20
	v_add_co_ci_u32_e64 v51, s0, v9, v21, s0
	s_clause 0x6
	global_load_dwordx2 v[18:19], v[10:11], off
	global_load_dwordx2 v[8:9], v[36:37], off
	;; [unrolled: 1-line block ×7, first 2 shown]
.LBB0_12:
	s_or_b32 exec_lo, exec_lo, s4
.LBB0_13:
	s_or_b32 exec_lo, exec_lo, s1
	s_waitcnt vmcnt(0)
	v_add_f32_e32 v48, v42, v44
	v_sub_f32_e32 v49, v43, v45
	v_add_f32_e32 v50, v46, v32
	v_sub_f32_e32 v51, v33, v47
	v_add_f32_e32 v1, v22, v42
	v_mul_f32_e32 v52, 0x3f575c64, v48
	v_mul_f32_e32 v53, 0x3ed4b147, v48
	;; [unrolled: 1-line block ×6, first 2 shown]
	v_fmamk_f32 v59, v49, 0x3f0a6770, v52
	v_fmac_f32_e32 v52, 0xbf0a6770, v49
	v_mul_f32_e32 v57, 0xbf27a4f4, v50
	v_mul_f32_e32 v58, 0xbf75a155, v50
	v_fmamk_f32 v60, v49, 0x3f68dda4, v53
	v_fmac_f32_e32 v53, 0xbf68dda4, v49
	v_fmamk_f32 v61, v49, 0x3f7d64f0, v54
	v_fmac_f32_e32 v54, 0xbf7d64f0, v49
	v_fmamk_f32 v62, v49, 0x3f4178ce, v55
	v_fmac_f32_e32 v55, 0xbf4178ce, v49
	v_fmamk_f32 v63, v49, 0x3e903f40, v48
	v_fmac_f32_e32 v48, 0xbe903f40, v49
	v_fmamk_f32 v49, v51, 0x3f68dda4, v56
	v_fmac_f32_e32 v56, 0xbf68dda4, v51
	v_add_f32_e32 v59, v59, v22
	v_add_f32_e32 v52, v52, v22
	v_fmamk_f32 v64, v51, 0x3f4178ce, v57
	v_add_f32_e32 v60, v60, v22
	v_add_f32_e32 v53, v53, v22
	;; [unrolled: 1-line block ×10, first 2 shown]
	v_fmac_f32_e32 v57, 0xbf4178ce, v51
	v_mul_f32_e32 v52, 0xbe11bafb, v50
	v_fmamk_f32 v56, v51, 0xbe903f40, v58
	v_fmac_f32_e32 v58, 0x3e903f40, v51
	v_mul_f32_e32 v50, 0x3f575c64, v50
	v_add_f32_e32 v53, v53, v57
	v_fmamk_f32 v57, v51, 0xbf7d64f0, v52
	v_add_f32_e32 v59, v60, v64
	v_add_f32_e32 v54, v54, v58
	;; [unrolled: 1-line block ×5, first 2 shown]
	v_fmac_f32_e32 v52, 0x3f7d64f0, v51
	v_fmamk_f32 v60, v51, 0xbf0a6770, v50
	v_sub_f32_e32 v61, v17, v41
	v_mul_f32_e32 v62, 0xbe11bafb, v58
	v_fmac_f32_e32 v50, 0x3f0a6770, v51
	v_add_f32_e32 v51, v55, v52
	v_add_f32_e32 v52, v63, v60
	v_mul_f32_e32 v55, 0xbf75a155, v58
	v_fmamk_f32 v60, v61, 0x3f7d64f0, v62
	v_add_f32_e32 v22, v22, v50
	v_mul_f32_e32 v50, 0x3ed4b147, v58
	v_fmac_f32_e32 v62, 0xbf7d64f0, v61
	v_fmamk_f32 v63, v61, 0xbe903f40, v55
	v_add_f32_e32 v48, v60, v48
	v_fmac_f32_e32 v55, 0x3e903f40, v61
	v_fmamk_f32 v60, v61, 0xbf68dda4, v50
	v_fmac_f32_e32 v50, 0x3f68dda4, v61
	v_add_f32_e32 v1, v1, v32
	v_add_f32_e32 v49, v62, v49
	;; [unrolled: 1-line block ×3, first 2 shown]
	v_mul_f32_e32 v55, 0x3f575c64, v58
	v_mul_f32_e32 v58, 0xbf27a4f4, v58
	v_add_f32_e32 v50, v50, v54
	v_add_f32_e32 v54, v34, v26
	;; [unrolled: 1-line block ×4, first 2 shown]
	v_fmamk_f32 v60, v61, 0x3f0a6770, v55
	v_fmac_f32_e32 v55, 0xbf0a6770, v61
	v_fmamk_f32 v62, v61, 0x3f4178ce, v58
	v_sub_f32_e32 v63, v27, v35
	v_mul_f32_e32 v64, 0xbf27a4f4, v54
	v_fmac_f32_e32 v58, 0xbf4178ce, v61
	v_add_f32_e32 v1, v1, v16
	v_add_f32_e32 v57, v60, v57
	;; [unrolled: 1-line block ×3, first 2 shown]
	v_fmamk_f32 v55, v63, 0x3f4178ce, v64
	v_mul_f32_e32 v60, 0xbe11bafb, v54
	v_add_f32_e32 v22, v58, v22
	v_mul_f32_e32 v58, 0x3f575c64, v54
	v_add_f32_e32 v1, v1, v26
	v_add_f32_e32 v52, v62, v52
	;; [unrolled: 1-line block ×3, first 2 shown]
	v_fmamk_f32 v55, v63, 0xbf7d64f0, v60
	v_fmamk_f32 v61, v63, 0x3f0a6770, v58
	v_mul_f32_e32 v62, 0xbf75a155, v54
	v_fmac_f32_e32 v58, 0xbf0a6770, v63
	v_add_f32_e32 v1, v1, v12
	v_fmac_f32_e32 v60, 0x3f7d64f0, v63
	v_add_f32_e32 v55, v59, v55
	v_fmamk_f32 v59, v63, 0x3e903f40, v62
	v_mul_f32_e32 v54, 0x3ed4b147, v54
	v_add_f32_e32 v50, v50, v58
	v_add_f32_e32 v58, v12, v14
	v_fmac_f32_e32 v62, 0xbe903f40, v63
	v_add_f32_e32 v1, v1, v14
	v_add_f32_e32 v53, v53, v60
	;; [unrolled: 1-line block ×4, first 2 shown]
	v_fmamk_f32 v59, v63, 0xbf68dda4, v54
	v_sub_f32_e32 v60, v13, v15
	v_mul_f32_e32 v61, 0xbf75a155, v58
	v_add_f32_e32 v51, v51, v62
	v_fmac_f32_e32 v54, 0x3f68dda4, v63
	v_mul_f32_e32 v62, 0x3f575c64, v58
	v_add_f32_e32 v1, v1, v34
	v_fmac_f32_e32 v64, 0xbf4178ce, v63
	v_add_f32_e32 v52, v52, v59
	v_fmamk_f32 v59, v60, 0x3e903f40, v61
	v_add_f32_e32 v22, v22, v54
	v_fmamk_f32 v54, v60, 0xbf0a6770, v62
	v_mul_f32_e32 v63, 0xbf27a4f4, v58
	v_add_f32_e32 v1, v1, v40
	v_add_f32_e32 v49, v49, v64
	v_fmac_f32_e32 v61, 0xbe903f40, v60
	v_add_f32_e32 v48, v59, v48
	v_fmac_f32_e32 v62, 0x3f0a6770, v60
	v_add_f32_e32 v54, v54, v55
	v_fmamk_f32 v55, v60, 0x3f4178ce, v63
	v_mul_f32_e32 v59, 0x3ed4b147, v58
	v_mul_f32_e32 v58, 0xbe11bafb, v58
	v_add_f32_e32 v1, v46, v1
	v_add_f32_e32 v49, v61, v49
	;; [unrolled: 1-line block ×4, first 2 shown]
	v_fmamk_f32 v56, v60, 0xbf68dda4, v59
	v_fmamk_f32 v62, v60, 0x3f7d64f0, v58
	v_fmac_f32_e32 v59, 0x3f68dda4, v60
	v_fmac_f32_e32 v58, 0xbf7d64f0, v60
	;; [unrolled: 1-line block ×3, first 2 shown]
	v_add_f32_e32 v1, v1, v44
	v_mad_u32_u24 v53, v0, 44, 0
	v_add_f32_e32 v56, v56, v57
	v_add_f32_e32 v52, v62, v52
	v_cmp_gt_u32_e64 s0, 63, v0
	v_add_f32_e32 v51, v59, v51
	v_add_f32_e32 v22, v58, v22
	;; [unrolled: 1-line block ×3, first 2 shown]
	ds_write2_b32 v53, v1, v48 offset1:1
	ds_write2_b32 v53, v54, v55 offset0:2 offset1:3
	ds_write2_b32 v53, v56, v52 offset0:4 offset1:5
	;; [unrolled: 1-line block ×4, first 2 shown]
	ds_write_b32 v53, v49 offset:40
	s_and_saveexec_b32 s1, s0
	s_cbranch_execz .LBB0_15
; %bb.14:
	v_sub_f32_e32 v1, v29, v37
	v_add_f32_e32 v22, v28, v36
	v_sub_f32_e32 v49, v25, v39
	v_add_f32_e32 v48, v24, v38
	v_sub_f32_e32 v52, v7, v31
	v_mul_f32_e32 v51, 0xbe903f40, v1
	v_add_f32_e32 v50, v6, v30
	v_mul_f32_e32 v56, 0x3f0a6770, v49
	v_sub_f32_e32 v55, v19, v21
	v_mul_f32_e32 v60, 0xbf4178ce, v52
	v_fmamk_f32 v57, v22, 0xbf75a155, v51
	v_fma_f32 v51, 0xbf75a155, v22, -v51
	v_fmamk_f32 v61, v48, 0x3f575c64, v56
	v_fma_f32 v56, 0x3f575c64, v48, -v56
	v_add_f32_e32 v54, v18, v20
	v_add_f32_e32 v57, v4, v57
	v_add_f32_e32 v51, v4, v51
	v_sub_f32_e32 v59, v9, v11
	v_mul_f32_e32 v62, 0x3f68dda4, v55
	v_fmamk_f32 v64, v50, 0xbf27a4f4, v60
	v_add_f32_e32 v57, v57, v61
	v_fma_f32 v60, 0xbf27a4f4, v50, -v60
	v_add_f32_e32 v51, v51, v56
	v_add_f32_e32 v58, v8, v10
	v_mul_f32_e32 v63, 0xbf7d64f0, v59
	v_mul_f32_e32 v61, 0xbf4178ce, v1
	v_fmamk_f32 v65, v54, 0x3ed4b147, v62
	v_add_f32_e32 v57, v57, v64
	v_fma_f32 v62, 0x3ed4b147, v54, -v62
	v_add_f32_e32 v51, v51, v60
	v_fmamk_f32 v64, v58, 0xbe11bafb, v63
	v_fmamk_f32 v56, v22, 0xbf27a4f4, v61
	v_add_f32_e32 v57, v57, v65
	v_mul_f32_e32 v65, 0x3f7d64f0, v49
	v_add_f32_e32 v51, v51, v62
	v_fma_f32 v62, 0xbe11bafb, v58, -v63
	v_fma_f32 v61, 0xbf27a4f4, v22, -v61
	v_add_f32_e32 v56, v4, v56
	v_add_f32_e32 v57, v57, v64
	v_fmamk_f32 v60, v48, 0xbe11bafb, v65
	v_mul_f32_e32 v64, 0xbf0a6770, v52
	v_add_f32_e32 v51, v51, v62
	v_add_f32_e32 v61, v4, v61
	v_fma_f32 v62, 0xbe11bafb, v48, -v65
	v_add_f32_e32 v56, v56, v60
	v_fmamk_f32 v60, v50, 0x3f575c64, v64
	v_mul_f32_e32 v63, 0xbe903f40, v55
	v_mul_f32_e32 v65, 0x3f68dda4, v59
	v_add_f32_e32 v61, v61, v62
	v_fma_f32 v62, 0x3f575c64, v50, -v64
	v_add_f32_e32 v56, v56, v60
	v_fmamk_f32 v60, v54, 0xbf75a155, v63
	v_mul_f32_e32 v66, 0xbf7d64f0, v1
	v_mul_f32_e32 v67, 0x3e903f40, v49
	v_add_f32_e32 v61, v61, v62
	v_fma_f32 v62, 0xbf75a155, v54, -v63
	v_add_f32_e32 v56, v56, v60
	v_fmamk_f32 v60, v58, 0x3ed4b147, v65
	v_fmamk_f32 v64, v22, 0xbe11bafb, v66
	;; [unrolled: 1-line block ×3, first 2 shown]
	v_add_f32_e32 v61, v61, v62
	v_fma_f32 v62, 0x3ed4b147, v58, -v65
	v_fma_f32 v65, 0xbe11bafb, v22, -v66
	v_add_f32_e32 v56, v56, v60
	v_add_f32_e32 v60, v4, v64
	v_mul_f32_e32 v64, 0x3f68dda4, v52
	v_add_f32_e32 v61, v61, v62
	v_add_f32_e32 v62, v4, v65
	v_fma_f32 v65, 0xbf75a155, v48, -v67
	v_add_f32_e32 v60, v60, v63
	v_fmamk_f32 v63, v50, 0x3ed4b147, v64
	v_mul_f32_e32 v66, 0xbf0a6770, v55
	v_fma_f32 v64, 0x3ed4b147, v50, -v64
	v_add_f32_e32 v62, v62, v65
	v_mul_f32_e32 v68, 0xbf4178ce, v59
	v_mul_f32_e32 v67, 0xbf68dda4, v1
	;; [unrolled: 1-line block ×3, first 2 shown]
	v_add_f32_e32 v60, v60, v63
	v_add_f32_e32 v62, v62, v64
	v_fma_f32 v64, 0x3f575c64, v54, -v66
	v_fmamk_f32 v69, v58, 0xbf27a4f4, v68
	v_fma_f32 v68, 0xbf27a4f4, v58, -v68
	v_fmamk_f32 v63, v54, 0x3f575c64, v66
	v_fmamk_f32 v66, v48, 0xbf27a4f4, v65
	v_add_f32_e32 v62, v62, v64
	v_fma_f32 v64, 0x3ed4b147, v22, -v67
	v_mul_f32_e32 v70, 0x3e903f40, v52
	v_fma_f32 v65, 0xbf27a4f4, v48, -v65
	v_add_f32_e32 v60, v60, v63
	v_add_f32_e32 v62, v62, v68
	;; [unrolled: 1-line block ×4, first 2 shown]
	v_fmamk_f32 v63, v22, 0x3ed4b147, v67
	v_mul_f32_e32 v67, 0x3f7d64f0, v55
	v_mul_f32_e32 v1, 0xbf0a6770, v1
	v_add_f32_e32 v68, v68, v24
	v_add_f32_e32 v64, v64, v65
	v_fma_f32 v65, 0xbf75a155, v50, -v70
	v_add_f32_e32 v60, v60, v69
	v_fmamk_f32 v69, v22, 0x3f575c64, v1
	v_add_f32_e32 v68, v68, v6
	v_fma_f32 v1, 0x3f575c64, v22, -v1
	v_add_f32_e32 v64, v64, v65
	v_fma_f32 v65, 0xbe11bafb, v54, -v67
	v_add_f32_e32 v63, v4, v63
	v_add_f32_e32 v22, v68, v18
	v_mul_f32_e32 v49, 0xbf68dda4, v49
	v_add_f32_e32 v1, v4, v1
	v_add_f32_e32 v64, v64, v65
	;; [unrolled: 1-line block ×4, first 2 shown]
	v_mul_f32_e32 v52, 0xbf7d64f0, v52
	v_fma_f32 v22, 0x3ed4b147, v48, -v49
	v_add_f32_e32 v63, v63, v66
	v_fmamk_f32 v66, v50, 0xbf75a155, v70
	v_add_f32_e32 v4, v4, v10
	v_fmamk_f32 v68, v48, 0x3ed4b147, v49
	v_mul_f32_e32 v55, 0xbf4178ce, v55
	v_add_f32_e32 v1, v1, v22
	v_fma_f32 v22, 0xbe11bafb, v50, -v52
	v_add_f32_e32 v4, v20, v4
	v_add_f32_e32 v63, v63, v66
	v_fmamk_f32 v66, v54, 0xbe11bafb, v67
	v_add_f32_e32 v48, v65, v68
	v_fmamk_f32 v49, v50, 0xbe11bafb, v52
	v_mul_f32_e32 v50, 0xbe903f40, v59
	v_add_f32_e32 v1, v1, v22
	v_fma_f32 v22, 0xbf27a4f4, v54, -v55
	v_add_f32_e32 v4, v30, v4
	v_add_f32_e32 v63, v63, v66
	v_mul_f32_e32 v66, 0x3f0a6770, v59
	v_add_f32_e32 v48, v48, v49
	v_fmamk_f32 v49, v54, 0xbf27a4f4, v55
	v_add_f32_e32 v1, v1, v22
	v_fma_f32 v22, 0xbf75a155, v58, -v50
	v_add_f32_e32 v4, v38, v4
	v_fma_f32 v52, 0x3f575c64, v58, -v66
	v_add_f32_e32 v48, v48, v49
	v_fmamk_f32 v49, v58, 0xbf75a155, v50
	v_fmamk_f32 v67, v58, 0x3f575c64, v66
	v_add_f32_e32 v1, v1, v22
	v_add_f32_e32 v4, v36, v4
	v_add_nc_u32_e32 v22, 0x1104, v53
	v_add_f32_e32 v52, v64, v52
	v_add_f32_e32 v48, v48, v49
	v_add_nc_u32_e32 v49, 0x110c, v53
	v_add_nc_u32_e32 v54, 0x1114, v53
	;; [unrolled: 1-line block ×3, first 2 shown]
	v_add_f32_e32 v50, v63, v67
	v_add_nc_u32_e32 v58, 0x1124, v53
	ds_write2_b32 v22, v4, v1 offset1:1
	ds_write2_b32 v49, v52, v62 offset1:1
	;; [unrolled: 1-line block ×5, first 2 shown]
	ds_write_b32 v53, v48 offset:4396
.LBB0_15:
	s_or_b32 exec_lo, exec_lo, s1
	v_add_f32_e32 v1, v23, v43
	v_sub_f32_e32 v4, v42, v44
	v_add_f32_e32 v22, v43, v45
	v_add_f32_e32 v42, v47, v33
	v_sub_f32_e32 v32, v32, v46
	v_add_f32_e32 v1, v1, v33
	v_mul_f32_e32 v33, 0xbf0a6770, v4
	v_mul_f32_e32 v43, 0xbf68dda4, v4
	;; [unrolled: 1-line block ×4, first 2 shown]
	v_add_f32_e32 v1, v1, v17
	v_mul_f32_e32 v4, 0xbe903f40, v4
	v_mul_f32_e32 v48, 0xbf68dda4, v32
	;; [unrolled: 1-line block ×3, first 2 shown]
	v_fmamk_f32 v51, v22, 0x3f575c64, v33
	v_add_f32_e32 v1, v1, v27
	v_fma_f32 v33, 0x3f575c64, v22, -v33
	v_fmamk_f32 v52, v22, 0x3ed4b147, v43
	v_fma_f32 v43, 0x3ed4b147, v22, -v43
	v_fmamk_f32 v56, v22, 0xbf75a155, v4
	v_add_f32_e32 v1, v1, v13
	v_mul_f32_e32 v50, 0x3e903f40, v32
	v_fmamk_f32 v54, v22, 0xbe11bafb, v44
	v_fma_f32 v44, 0xbe11bafb, v22, -v44
	v_fmamk_f32 v55, v22, 0xbf27a4f4, v46
	v_add_f32_e32 v1, v1, v15
	v_fma_f32 v46, 0xbf27a4f4, v22, -v46
	v_fma_f32 v4, 0xbf75a155, v22, -v4
	v_fmamk_f32 v22, v42, 0x3ed4b147, v48
	v_fma_f32 v48, 0x3ed4b147, v42, -v48
	v_add_f32_e32 v1, v1, v35
	v_add_f32_e32 v33, v33, v23
	;; [unrolled: 1-line block ×14, first 2 shown]
	v_fma_f32 v48, 0xbf75a155, v42, -v50
	v_add_f32_e32 v56, v1, v45
	v_fma_f32 v1, 0xbf27a4f4, v42, -v49
	v_sub_f32_e32 v16, v16, v40
	v_add_f32_e32 v17, v17, v41
	v_add_f32_e32 v44, v44, v48
	v_fmamk_f32 v57, v42, 0xbf27a4f4, v49
	v_add_f32_e32 v1, v43, v1
	v_mul_f32_e32 v43, 0x3f7d64f0, v32
	v_mul_f32_e32 v32, 0x3f0a6770, v32
	;; [unrolled: 1-line block ×3, first 2 shown]
	v_add_f32_e32 v22, v51, v22
	v_fmamk_f32 v33, v42, 0xbf75a155, v50
	v_fmamk_f32 v40, v42, 0xbe11bafb, v43
	v_fma_f32 v43, 0xbe11bafb, v42, -v43
	v_fmamk_f32 v48, v42, 0x3f575c64, v32
	v_fma_f32 v32, 0x3f575c64, v42, -v32
	v_add_f32_e32 v45, v52, v57
	v_add_f32_e32 v33, v54, v33
	;; [unrolled: 1-line block ×4, first 2 shown]
	v_fmamk_f32 v46, v17, 0xbe11bafb, v41
	v_mul_f32_e32 v47, 0x3e903f40, v16
	v_add_f32_e32 v4, v4, v32
	v_fma_f32 v32, 0xbe11bafb, v17, -v41
	v_mul_f32_e32 v41, 0x3f68dda4, v16
	v_add_f32_e32 v22, v46, v22
	v_fmamk_f32 v46, v17, 0xbf75a155, v47
	v_sub_f32_e32 v26, v26, v34
	v_add_f32_e32 v23, v32, v23
	v_fmamk_f32 v32, v17, 0x3ed4b147, v41
	v_fma_f32 v41, 0x3ed4b147, v17, -v41
	v_add_f32_e32 v45, v46, v45
	v_mul_f32_e32 v46, 0xbf0a6770, v16
	v_mul_f32_e32 v16, 0xbf4178ce, v16
	v_add_f32_e32 v32, v32, v33
	v_add_f32_e32 v33, v41, v44
	;; [unrolled: 1-line block ×3, first 2 shown]
	v_mul_f32_e32 v35, 0xbf4178ce, v26
	v_fmamk_f32 v44, v17, 0xbf27a4f4, v16
	v_fma_f32 v16, 0xbf27a4f4, v17, -v16
	v_add_f32_e32 v40, v55, v40
	v_fmamk_f32 v34, v17, 0x3f575c64, v46
	v_fma_f32 v41, 0x3f575c64, v17, -v46
	v_fma_f32 v47, 0xbf75a155, v17, -v47
	v_add_f32_e32 v4, v16, v4
	v_fma_f32 v16, 0xbf27a4f4, v27, -v35
	v_add_f32_e32 v34, v34, v40
	v_add_f32_e32 v17, v41, v42
	v_fmamk_f32 v40, v27, 0xbf27a4f4, v35
	v_mul_f32_e32 v42, 0x3f7d64f0, v26
	v_mul_f32_e32 v35, 0xbf0a6770, v26
	v_add_f32_e32 v16, v23, v16
	v_mul_f32_e32 v23, 0xbe903f40, v26
	v_mul_f32_e32 v26, 0x3f68dda4, v26
	v_add_f32_e32 v1, v47, v1
	v_add_f32_e32 v22, v22, v40
	v_fmamk_f32 v40, v27, 0xbe11bafb, v42
	v_fma_f32 v42, 0xbe11bafb, v27, -v42
	v_add_f32_e32 v41, v44, v43
	v_sub_f32_e32 v12, v12, v14
	v_fmamk_f32 v14, v27, 0x3ed4b147, v26
	v_add_f32_e32 v57, v13, v15
	v_add_f32_e32 v1, v1, v42
	v_fmamk_f32 v42, v27, 0xbf75a155, v23
	v_fma_f32 v23, 0xbf75a155, v27, -v23
	v_add_f32_e32 v58, v41, v14
	v_mul_f32_e32 v14, 0x3f0a6770, v12
	v_fmamk_f32 v43, v27, 0x3f575c64, v35
	v_mul_f32_e32 v13, 0xbe903f40, v12
	v_add_f32_e32 v55, v17, v23
	v_fma_f32 v17, 0x3ed4b147, v27, -v26
	v_mul_f32_e32 v15, 0xbf4178ce, v12
	v_mad_i32_i24 v44, 0xffffffd8, v0, v53
	v_fmamk_f32 v23, v57, 0x3f575c64, v14
	v_fma_f32 v14, 0x3f575c64, v57, -v14
	v_add_f32_e32 v40, v45, v40
	v_fma_f32 v35, 0x3f575c64, v27, -v35
	v_add_f32_e32 v32, v32, v43
	v_add_f32_e32 v4, v4, v17
	v_fmamk_f32 v17, v57, 0xbf75a155, v13
	v_fma_f32 v13, 0xbf75a155, v57, -v13
	v_fmamk_f32 v26, v57, 0xbf27a4f4, v15
	v_add_nc_u32_e32 v49, 0xc00, v44
	v_add_nc_u32_e32 v46, 0x800, v44
	v_add_nc_u32_e32 v48, 0x1400, v44
	v_add_f32_e32 v62, v14, v1
	v_add_nc_u32_e32 v1, 0x1200, v44
	v_add_nc_u32_e32 v52, 0x400, v44
	;; [unrolled: 1-line block ×5, first 2 shown]
	v_add_f32_e32 v45, v33, v35
	v_add_f32_e32 v54, v34, v42
	;; [unrolled: 1-line block ×6, first 2 shown]
	v_fma_f32 v64, 0xbf27a4f4, v57, -v15
	v_mul_f32_e32 v65, 0x3f68dda4, v12
	v_mul_f32_e32 v66, 0xbf7d64f0, v12
	s_waitcnt lgkmcnt(0)
	s_barrier
	buffer_gl0_inv
	ds_read2_b32 v[14:15], v44 offset1:99
	ds_read2_b32 v[26:27], v46 offset0:82 offset1:181
	ds_read2_b32 v[22:23], v1 offset0:36 offset1:135
	;; [unrolled: 1-line block ×8, first 2 shown]
	v_fmamk_f32 v67, v57, 0x3ed4b147, v65
	v_fmamk_f32 v68, v57, 0xbe11bafb, v66
	v_fma_f32 v65, 0x3ed4b147, v57, -v65
	v_fma_f32 v57, 0xbe11bafb, v57, -v66
	v_add_f32_e32 v64, v64, v45
	v_add_nc_u32_e32 v45, 0x63, v0
	v_add_f32_e32 v54, v67, v54
	v_add_f32_e32 v58, v68, v58
	;; [unrolled: 1-line block ×4, first 2 shown]
	s_waitcnt lgkmcnt(0)
	s_barrier
	buffer_gl0_inv
	ds_write2_b32 v53, v56, v59 offset1:1
	ds_write2_b32 v53, v61, v63 offset0:2 offset1:3
	ds_write2_b32 v53, v54, v58 offset0:4 offset1:5
	;; [unrolled: 1-line block ×4, first 2 shown]
	ds_write_b32 v53, v60 offset:40
	s_and_saveexec_b32 s1, s0
	s_cbranch_execz .LBB0_17
; %bb.16:
	v_add_f32_e32 v4, v5, v29
	v_sub_f32_e32 v28, v28, v36
	v_add_f32_e32 v29, v29, v37
	v_add_f32_e32 v36, v25, v39
	v_sub_f32_e32 v24, v24, v38
	v_add_f32_e32 v4, v4, v25
	v_mul_f32_e32 v25, 0xbf0a6770, v28
	v_mul_f32_e32 v38, 0xbf68dda4, v28
	;; [unrolled: 1-line block ×4, first 2 shown]
	v_add_f32_e32 v4, v4, v7
	v_mul_f32_e32 v28, 0xbe903f40, v28
	v_mul_f32_e32 v55, 0xbf68dda4, v24
	v_fmamk_f32 v58, v29, 0x3f575c64, v25
	v_mul_f32_e32 v56, 0xbf4178ce, v24
	v_add_f32_e32 v4, v4, v19
	v_fma_f32 v25, 0x3f575c64, v29, -v25
	v_fmamk_f32 v59, v29, 0x3ed4b147, v38
	v_fma_f32 v38, 0x3ed4b147, v29, -v38
	v_fmamk_f32 v60, v29, 0xbe11bafb, v53
	v_add_f32_e32 v4, v4, v9
	v_fma_f32 v53, 0xbe11bafb, v29, -v53
	v_fmamk_f32 v61, v29, 0xbf27a4f4, v54
	v_fma_f32 v54, 0xbf27a4f4, v29, -v54
	v_fmamk_f32 v62, v29, 0xbf75a155, v28
	v_add_f32_e32 v4, v4, v11
	v_fma_f32 v28, 0xbf75a155, v29, -v28
	v_fmamk_f32 v29, v36, 0x3ed4b147, v55
	v_add_f32_e32 v58, v5, v58
	v_mul_f32_e32 v57, 0x3e903f40, v24
	v_add_f32_e32 v4, v21, v4
	v_fma_f32 v55, 0x3ed4b147, v36, -v55
	v_add_f32_e32 v25, v5, v25
	v_add_f32_e32 v59, v5, v59
	;; [unrolled: 1-line block ×13, first 2 shown]
	v_fma_f32 v29, 0xbf27a4f4, v36, -v56
	v_fma_f32 v55, 0xbf75a155, v36, -v57
	v_sub_f32_e32 v6, v6, v30
	v_add_f32_e32 v7, v7, v31
	v_fmamk_f32 v63, v36, 0xbf27a4f4, v56
	v_add_f32_e32 v29, v38, v29
	v_mul_f32_e32 v38, 0x3f7d64f0, v24
	v_mul_f32_e32 v24, 0x3f0a6770, v24
	v_add_f32_e32 v53, v53, v55
	v_mul_f32_e32 v31, 0xbf7d64f0, v6
	v_add_f32_e32 v4, v37, v4
	v_fmamk_f32 v30, v36, 0xbe11bafb, v38
	v_fma_f32 v38, 0xbe11bafb, v36, -v38
	v_fmamk_f32 v55, v36, 0x3f575c64, v24
	v_fmamk_f32 v37, v36, 0xbf75a155, v57
	v_fma_f32 v24, 0x3f575c64, v36, -v24
	v_fmamk_f32 v36, v7, 0xbe11bafb, v31
	v_add_f32_e32 v38, v39, v38
	v_add_f32_e32 v39, v54, v55
	v_mul_f32_e32 v54, 0x3e903f40, v6
	v_fma_f32 v31, 0xbe11bafb, v7, -v31
	v_add_f32_e32 v5, v5, v24
	v_add_f32_e32 v24, v28, v36
	;; [unrolled: 1-line block ×3, first 2 shown]
	v_fmamk_f32 v36, v7, 0xbf75a155, v54
	v_add_f32_e32 v25, v25, v31
	v_fma_f32 v31, 0xbf75a155, v7, -v54
	v_mul_f32_e32 v54, 0xbf0a6770, v6
	v_mul_f32_e32 v28, 0x3f68dda4, v6
	;; [unrolled: 1-line block ×3, first 2 shown]
	v_sub_f32_e32 v18, v18, v20
	v_add_f32_e32 v29, v29, v31
	v_fmamk_f32 v31, v7, 0x3f575c64, v54
	v_fmamk_f32 v55, v7, 0x3ed4b147, v28
	v_fma_f32 v28, 0x3ed4b147, v7, -v28
	v_add_f32_e32 v19, v19, v21
	v_mul_f32_e32 v21, 0xbf4178ce, v18
	v_add_f32_e32 v20, v30, v31
	v_fma_f32 v30, 0x3f575c64, v7, -v54
	v_fmamk_f32 v31, v7, 0xbf27a4f4, v6
	v_fma_f32 v6, 0xbf27a4f4, v7, -v6
	v_add_f32_e32 v28, v53, v28
	v_sub_f32_e32 v8, v8, v10
	v_add_f32_e32 v7, v38, v30
	v_add_f32_e32 v30, v39, v31
	v_mul_f32_e32 v31, 0x3f7d64f0, v18
	v_fmamk_f32 v38, v19, 0xbf27a4f4, v21
	v_add_f32_e32 v5, v5, v6
	v_fma_f32 v6, 0xbf27a4f4, v19, -v21
	v_mul_f32_e32 v21, 0xbf0a6770, v18
	v_fmamk_f32 v39, v19, 0xbe11bafb, v31
	v_fma_f32 v31, 0xbe11bafb, v19, -v31
	v_add_f32_e32 v37, v60, v37
	v_add_f32_e32 v6, v25, v6
	v_fmamk_f32 v25, v19, 0x3f575c64, v21
	v_fma_f32 v21, 0x3f575c64, v19, -v21
	v_add_f32_e32 v29, v29, v31
	v_mul_f32_e32 v31, 0xbe903f40, v18
	v_mul_f32_e32 v18, 0x3f68dda4, v18
	v_add_f32_e32 v9, v9, v11
	v_add_f32_e32 v21, v28, v21
	v_mul_f32_e32 v11, 0xbe903f40, v8
	v_fmamk_f32 v10, v19, 0xbf75a155, v31
	v_fma_f32 v28, 0xbf75a155, v19, -v31
	v_fmamk_f32 v31, v19, 0x3ed4b147, v18
	v_fma_f32 v18, 0x3ed4b147, v19, -v18
	v_add_f32_e32 v37, v37, v55
	v_add_f32_e32 v10, v20, v10
	v_fmamk_f32 v20, v9, 0xbf75a155, v11
	v_fma_f32 v11, 0xbf75a155, v9, -v11
	v_add_f32_e32 v5, v5, v18
	v_mul_f32_e32 v18, 0xbf4178ce, v8
	v_add_f32_e32 v56, v59, v63
	v_add_f32_e32 v24, v24, v38
	;; [unrolled: 1-line block ×3, first 2 shown]
	v_mul_f32_e32 v28, 0x3f0a6770, v8
	v_add_f32_e32 v25, v37, v25
	v_add_f32_e32 v19, v30, v31
	v_add_f32_e32 v6, v6, v11
	v_fmamk_f32 v11, v9, 0xbf27a4f4, v18
	v_mul_f32_e32 v30, 0x3f68dda4, v8
	v_add_f32_e32 v36, v56, v36
	v_add_f32_e32 v20, v24, v20
	v_fmamk_f32 v24, v9, 0x3f575c64, v28
	v_fma_f32 v28, 0x3f575c64, v9, -v28
	v_mul_f32_e32 v8, 0xbf7d64f0, v8
	v_add_f32_e32 v11, v25, v11
	v_fmamk_f32 v25, v9, 0x3ed4b147, v30
	v_add_f32_e32 v36, v36, v39
	v_add_f32_e32 v28, v29, v28
	v_fma_f32 v29, 0x3ed4b147, v9, -v30
	v_fmamk_f32 v30, v9, 0xbe11bafb, v8
	v_fma_f32 v8, 0xbe11bafb, v9, -v8
	v_fma_f32 v18, 0xbf27a4f4, v9, -v18
	v_add_f32_e32 v9, v10, v25
	v_mad_u32_u24 v10, v45, 44, 0
	v_add_f32_e32 v24, v36, v24
	v_add_f32_e32 v19, v19, v30
	;; [unrolled: 1-line block ×5, first 2 shown]
	ds_write2_b32 v10, v4, v20 offset1:1
	ds_write2_b32 v10, v24, v11 offset0:2 offset1:3
	ds_write2_b32 v10, v9, v19 offset0:4 offset1:5
	;; [unrolled: 1-line block ×4, first 2 shown]
	ds_write_b32 v10, v6 offset:40
.LBB0_17:
	s_or_b32 exec_lo, exec_lo, s1
	v_add_nc_u32_e32 v28, 0xc6, v0
	v_mov_b32_e32 v7, 0xba2f
	v_add_nc_u32_e32 v4, 0x129, v0
	s_waitcnt lgkmcnt(0)
	s_barrier
	buffer_gl0_inv
	v_mul_u32_u24_sdwa v5, v28, v7 dst_sel:DWORD dst_unused:UNUSED_PAD src0_sel:WORD_0 src1_sel:DWORD
	v_mul_u32_u24_sdwa v6, v4, v7 dst_sel:DWORD dst_unused:UNUSED_PAD src0_sel:WORD_0 src1_sel:DWORD
	v_and_b32_e32 v68, 0xff, v0
	v_and_b32_e32 v69, 0xff, v45
	v_lshrrev_b32_e32 v11, 19, v5
	v_lshrrev_b32_e32 v61, 19, v6
	v_mov_b32_e32 v5, 4
	v_mul_lo_u16 v6, v11, 11
	v_mul_lo_u16 v8, v61, 11
	v_mul_u32_u24_e32 v11, 0x84, v11
	v_sub_nc_u16 v62, v28, v6
	v_sub_nc_u16 v63, v4, v8
	v_lshlrev_b32_sdwa v6, v5, v62 dst_sel:DWORD dst_unused:UNUSED_PAD src0_sel:DWORD src1_sel:WORD_0
	v_lshlrev_b32_sdwa v8, v5, v63 dst_sel:DWORD dst_unused:UNUSED_PAD src0_sel:DWORD src1_sel:WORD_0
	s_clause 0x1
	global_load_dwordx4 v[18:21], v6, s[8:9]
	global_load_dwordx4 v[36:39], v8, s[8:9]
	v_add_nc_u32_e32 v8, 0x18c, v0
	v_add_nc_u32_e32 v6, 0x1ef, v0
	v_mul_u32_u24_sdwa v9, v8, v7 dst_sel:DWORD dst_unused:UNUSED_PAD src0_sel:WORD_0 src1_sel:DWORD
	v_mul_u32_u24_sdwa v7, v6, v7 dst_sel:DWORD dst_unused:UNUSED_PAD src0_sel:WORD_0 src1_sel:DWORD
	v_lshrrev_b32_e32 v64, 19, v9
	v_lshrrev_b32_e32 v65, 19, v7
	v_mul_lo_u16 v9, v64, 11
	v_mul_lo_u16 v7, v65, 11
	v_sub_nc_u16 v66, v8, v9
	v_sub_nc_u16 v67, v6, v7
	v_lshlrev_b32_sdwa v9, v5, v66 dst_sel:DWORD dst_unused:UNUSED_PAD src0_sel:DWORD src1_sel:WORD_0
	v_lshlrev_b32_sdwa v7, v5, v67 dst_sel:DWORD dst_unused:UNUSED_PAD src0_sel:DWORD src1_sel:WORD_0
	s_clause 0x1
	global_load_dwordx4 v[53:56], v9, s[8:9]
	global_load_dwordx4 v[57:60], v7, s[8:9]
	v_mul_lo_u16 v7, 0x75, v68
	v_lshrrev_b16 v7, 8, v7
	v_sub_nc_u16 v9, v0, v7
	v_lshrrev_b16 v9, 1, v9
	v_and_b32_e32 v29, 0x7f, v9
	ds_read2_b32 v[9:10], v49 offset0:24 offset1:123
	ds_read2_b32 v[24:25], v48 offset0:106 offset1:205
	v_add_nc_u16 v7, v29, v7
	v_lshrrev_b16 v70, 3, v7
	v_mul_lo_u16 v7, 0x75, v69
	v_mul_lo_u16 v29, v70, 11
	v_lshrrev_b16 v7, 8, v7
	v_sub_nc_u16 v71, v0, v29
	s_waitcnt vmcnt(3)
	v_mul_f32_e32 v72, v42, v19
	s_waitcnt lgkmcnt(1)
	v_mul_f32_e32 v29, v9, v19
	v_mul_f32_e32 v73, v40, v21
	s_waitcnt lgkmcnt(0)
	v_mul_f32_e32 v19, v24, v21
	s_waitcnt vmcnt(2)
	v_mul_f32_e32 v21, v10, v37
	v_fmac_f32_e32 v72, v9, v18
	v_sub_nc_u16 v9, v45, v7
	v_fma_f32 v42, v42, v18, -v29
	v_fmac_f32_e32 v73, v24, v20
	v_mul_f32_e32 v37, v43, v37
	v_mul_f32_e32 v24, v25, v39
	;; [unrolled: 1-line block ×3, first 2 shown]
	v_lshrrev_b16 v29, 1, v9
	v_fma_f32 v43, v43, v36, -v21
	v_fmac_f32_e32 v37, v10, v36
	v_fma_f32 v36, v41, v38, -v24
	ds_read2_b32 v[9:10], v50 offset0:94 offset1:193
	v_fmac_f32_e32 v39, v25, v38
	ds_read2_b32 v[24:25], v51 offset0:48 offset1:147
	v_and_b32_e32 v29, 0x7f, v29
	v_lshlrev_b32_sdwa v18, v5, v71 dst_sel:DWORD dst_unused:UNUSED_PAD src0_sel:DWORD src1_sel:BYTE_0
	v_fma_f32 v40, v40, v20, -v19
	v_add_nc_u16 v7, v29, v7
	global_load_dwordx4 v[18:21], v18, s[8:9]
	v_lshrrev_b16 v38, 3, v7
	s_waitcnt vmcnt(2)
	v_mul_f32_e32 v41, v34, v54
	v_mul_lo_u16 v7, v38, 11
	s_waitcnt lgkmcnt(1)
	v_mul_f32_e32 v29, v9, v54
	v_mul_f32_e32 v54, v32, v56
	s_waitcnt lgkmcnt(0)
	v_mul_f32_e32 v30, v24, v56
	v_sub_nc_u16 v56, v45, v7
	v_fmac_f32_e32 v41, v9, v53
	v_fma_f32 v34, v34, v53, -v29
	v_fmac_f32_e32 v54, v24, v55
	v_fma_f32 v53, v32, v55, -v30
	v_lshlrev_b32_sdwa v9, v5, v56 dst_sel:DWORD dst_unused:UNUSED_PAD src0_sel:DWORD src1_sel:BYTE_0
	s_waitcnt vmcnt(1)
	v_mul_f32_e32 v7, v10, v58
	v_mul_f32_e32 v55, v35, v58
	global_load_dwordx4 v[29:32], v9, s[8:9]
	v_fma_f32 v35, v35, v57, -v7
	v_fmac_f32_e32 v55, v10, v57
	v_mul_f32_e32 v57, v33, v60
	v_mul_f32_e32 v7, v25, v60
	ds_read2_b32 v[9:10], v46 offset0:82 offset1:181
	v_fmac_f32_e32 v57, v25, v59
	ds_read2_b32 v[24:25], v1 offset0:36 offset1:135
	v_fma_f32 v33, v33, v59, -v7
	s_waitcnt vmcnt(1) lgkmcnt(1)
	v_mul_f32_e32 v7, v9, v19
	v_mul_f32_e32 v58, v26, v19
	s_waitcnt lgkmcnt(0)
	v_mul_f32_e32 v19, v24, v21
	v_mul_f32_e32 v59, v22, v21
	v_fma_f32 v60, v26, v18, -v7
	v_fmac_f32_e32 v58, v9, v18
	v_fma_f32 v9, v22, v20, -v19
	v_mov_b32_e32 v7, 2
	v_mul_lo_u16 v22, 0xf9, v68
	v_fmac_f32_e32 v59, v24, v20
	v_mul_lo_u16 v24, 0xf9, v69
	ds_read2_b32 v[18:19], v44 offset1:99
	v_lshlrev_b32_sdwa v20, v7, v62 dst_sel:DWORD dst_unused:UNUSED_PAD src0_sel:DWORD src1_sel:WORD_0
	v_lshrrev_b16 v62, 13, v22
	v_mul_u32_u24_e32 v22, 0x84, v61
	v_lshlrev_b32_sdwa v26, v7, v63 dst_sel:DWORD dst_unused:UNUSED_PAD src0_sel:DWORD src1_sel:WORD_0
	v_mul_u32_u24_e32 v61, 0x84, v64
	v_mul_u32_u24_e32 v63, 0x84, v65
	v_lshlrev_b32_sdwa v64, v7, v66 dst_sel:DWORD dst_unused:UNUSED_PAD src0_sel:DWORD src1_sel:WORD_0
	v_lshlrev_b32_sdwa v65, v7, v67 dst_sel:DWORD dst_unused:UNUSED_PAD src0_sel:DWORD src1_sel:WORD_0
	v_add3_u32 v22, 0, v22, v26
	v_mov_b32_e32 v26, 0x84
	v_add3_u32 v11, 0, v11, v20
	ds_read2_b32 v[20:21], v47 offset0:70 offset1:169
	v_add3_u32 v61, 0, v61, v64
	v_add3_u32 v63, 0, v63, v65
	v_mul_u32_u24_sdwa v64, v70, v26 dst_sel:DWORD dst_unused:UNUSED_PAD src0_sel:WORD_0 src1_sel:DWORD
	v_lshlrev_b32_sdwa v65, v7, v71 dst_sel:DWORD dst_unused:UNUSED_PAD src0_sel:DWORD src1_sel:BYTE_0
	v_mul_u32_u24_sdwa v38, v38, v26 dst_sel:DWORD dst_unused:UNUSED_PAD src0_sel:WORD_0 src1_sel:DWORD
	s_waitcnt vmcnt(0)
	v_mul_f32_e32 v26, v10, v30
	v_mul_f32_e32 v30, v27, v30
	v_lshrrev_b16 v66, 13, v24
	v_add3_u32 v64, 0, v64, v65
	v_mul_lo_u16 v24, v62, 33
	v_fma_f32 v65, v27, v29, -v26
	ds_read2_b32 v[26:27], v52 offset0:140 offset1:239
	v_lshlrev_b32_sdwa v56, v7, v56 dst_sel:DWORD dst_unused:UNUSED_PAD src0_sel:DWORD src1_sel:BYTE_0
	v_fmac_f32_e32 v30, v10, v29
	v_sub_nc_u16 v68, v0, v24
	v_mul_f32_e32 v24, v25, v32
	v_mul_f32_e32 v10, v23, v32
	v_add3_u32 v56, 0, v38, v56
	v_add_f32_e32 v29, v12, v42
	v_sub_f32_e32 v38, v42, v40
	v_fma_f32 v23, v23, v31, -v24
	v_add_f32_e32 v24, v42, v40
	v_fmac_f32_e32 v10, v25, v31
	s_waitcnt lgkmcnt(1)
	v_add_f32_e32 v25, v20, v72
	v_add_f32_e32 v42, v13, v43
	;; [unrolled: 1-line block ×4, first 2 shown]
	v_sub_f32_e32 v32, v72, v73
	v_add_f32_e32 v31, v72, v73
	v_sub_f32_e32 v70, v37, v39
	v_add_f32_e32 v37, v37, v39
	;; [unrolled: 2-line block ×3, first 2 shown]
	v_add_f32_e32 v29, v29, v40
	v_add_f32_e32 v40, v34, v53
	v_add_f32_e32 v73, v25, v73
	v_sub_f32_e32 v25, v41, v54
	v_add_f32_e32 v36, v42, v36
	s_waitcnt lgkmcnt(0)
	v_add_f32_e32 v42, v26, v41
	v_add_f32_e32 v41, v41, v54
	v_fmac_f32_e32 v13, -0.5, v69
	v_add_f32_e32 v69, v17, v35
	v_add_f32_e32 v71, v71, v39
	;; [unrolled: 1-line block ×3, first 2 shown]
	v_sub_f32_e32 v34, v34, v53
	v_fmac_f32_e32 v21, -0.5, v37
	v_sub_f32_e32 v37, v55, v57
	v_add_f32_e32 v53, v72, v53
	v_add_f32_e32 v72, v27, v55
	v_add_f32_e32 v55, v55, v57
	v_sub_f32_e32 v35, v35, v33
	v_fma_f32 v12, -0.5, v24, v12
	v_fma_f32 v16, -0.5, v40, v16
	;; [unrolled: 1-line block ×3, first 2 shown]
	v_add_f32_e32 v24, v69, v33
	v_fmac_f32_e32 v17, -0.5, v39
	v_add_f32_e32 v33, v14, v60
	v_fma_f32 v20, -0.5, v31, v20
	v_fmac_f32_e32 v27, -0.5, v55
	v_fmamk_f32 v26, v32, 0x3f5db3d7, v12
	v_fmac_f32_e32 v12, 0xbf5db3d7, v32
	v_fmamk_f32 v69, v43, 0xbf5db3d7, v21
	v_fmac_f32_e32 v21, 0x3f5db3d7, v43
	;; [unrolled: 2-line block ×5, first 2 shown]
	v_add_f32_e32 v34, v60, v9
	v_add_f32_e32 v37, v18, v58
	v_sub_f32_e32 v39, v60, v9
	v_add_f32_e32 v9, v33, v9
	v_add_f32_e32 v33, v65, v23
	v_fmamk_f32 v55, v38, 0xbf5db3d7, v20
	v_fmac_f32_e32 v20, 0x3f5db3d7, v38
	v_add_f32_e32 v38, v58, v59
	v_mul_lo_u16 v67, v66, 33
	v_fmamk_f32 v31, v70, 0x3f5db3d7, v13
	v_fmac_f32_e32 v13, 0xbf5db3d7, v70
	v_fmamk_f32 v70, v35, 0xbf5db3d7, v27
	v_fmac_f32_e32 v27, 0x3f5db3d7, v35
	v_sub_f32_e32 v35, v58, v59
	v_add_f32_e32 v40, v15, v65
	v_add_f32_e32 v58, v37, v59
	v_add_f32_e32 v37, v19, v30
	v_fmac_f32_e32 v15, -0.5, v33
	v_sub_f32_e32 v33, v30, v10
	v_add_f32_e32 v30, v30, v10
	v_fma_f32 v14, -0.5, v34, v14
	v_fma_f32 v18, -0.5, v38, v18
	v_sub_nc_u16 v67, v45, v67
	v_sub_f32_e32 v41, v65, v23
	v_fmac_f32_e32 v19, -0.5, v30
	v_fmamk_f32 v30, v35, 0x3f5db3d7, v14
	v_lshlrev_b32_sdwa v59, v5, v68 dst_sel:DWORD dst_unused:UNUSED_PAD src0_sel:DWORD src1_sel:BYTE_0
	v_fmac_f32_e32 v14, 0xbf5db3d7, v35
	v_fmamk_f32 v65, v39, 0xbf5db3d7, v18
	v_add_f32_e32 v23, v40, v23
	v_lshlrev_b32_sdwa v60, v5, v67 dst_sel:DWORD dst_unused:UNUSED_PAD src0_sel:DWORD src1_sel:BYTE_0
	v_fmac_f32_e32 v18, 0x3f5db3d7, v39
	v_fmamk_f32 v34, v33, 0x3f5db3d7, v15
	v_add_f32_e32 v57, v72, v57
	v_add_f32_e32 v10, v37, v10
	v_fmac_f32_e32 v15, 0xbf5db3d7, v33
	v_fmamk_f32 v72, v41, 0xbf5db3d7, v19
	v_fmac_f32_e32 v19, 0x3f5db3d7, v41
	s_barrier
	buffer_gl0_inv
	ds_write2_b32 v64, v9, v30 offset1:11
	ds_write_b32 v64, v14 offset:88
	ds_write2_b32 v56, v23, v34 offset1:11
	ds_write_b32 v56, v15 offset:88
	ds_write2_b32 v11, v29, v26 offset1:11
	ds_write_b32 v11, v12 offset:88
	ds_write2_b32 v22, v36, v31 offset1:11
	ds_write_b32 v22, v13 offset:88
	ds_write2_b32 v61, v53, v32 offset1:11
	ds_write_b32 v61, v16 offset:88
	ds_write2_b32 v63, v24, v25 offset1:11
	ds_write_b32 v63, v17 offset:88
	v_mov_b32_e32 v9, 0xf83f
	v_add_f32_e32 v54, v42, v54
	s_waitcnt lgkmcnt(0)
	s_barrier
	buffer_gl0_inv
	ds_read2_b32 v[23:24], v44 offset1:99
	ds_read2_b32 v[25:26], v46 offset0:82 offset1:181
	ds_read2_b32 v[29:30], v1 offset0:36 offset1:135
	;; [unrolled: 1-line block ×8, first 2 shown]
	s_waitcnt lgkmcnt(0)
	s_barrier
	buffer_gl0_inv
	ds_write2_b32 v64, v58, v65 offset1:11
	ds_write_b32 v64, v18 offset:88
	ds_write2_b32 v56, v10, v72 offset1:11
	ds_write_b32 v56, v19 offset:88
	ds_write2_b32 v11, v73, v55 offset1:11
	ds_write_b32 v11, v20 offset:88
	ds_write2_b32 v22, v71, v69 offset1:11
	ds_write_b32 v22, v21 offset:88
	ds_write2_b32 v61, v54, v43 offset1:11
	ds_write_b32 v61, v74 offset:88
	ds_write2_b32 v63, v57, v70 offset1:11
	ds_write_b32 v63, v27 offset:88
	s_waitcnt lgkmcnt(0)
	s_barrier
	buffer_gl0_inv
	s_clause 0x1
	global_load_dwordx4 v[11:14], v59, s[8:9] offset:176
	global_load_dwordx4 v[15:18], v60, s[8:9] offset:176
	v_mul_u32_u24_sdwa v10, v28, v9 dst_sel:DWORD dst_unused:UNUSED_PAD src0_sel:WORD_0 src1_sel:DWORD
	v_lshrrev_b32_e32 v27, 21, v10
	v_mul_lo_u16 v10, v27, 33
	v_sub_nc_u16 v43, v28, v10
	v_lshlrev_b32_sdwa v10, v5, v43 dst_sel:DWORD dst_unused:UNUSED_PAD src0_sel:DWORD src1_sel:WORD_0
	v_lshlrev_b32_sdwa v43, v7, v43 dst_sel:DWORD dst_unused:UNUSED_PAD src0_sel:DWORD src1_sel:WORD_0
	global_load_dwordx4 v[19:22], v10, s[8:9] offset:176
	ds_read2_b32 v[53:54], v46 offset0:82 offset1:181
	ds_read2_b32 v[55:56], v1 offset0:36 offset1:135
	v_mul_u32_u24_sdwa v10, v4, v9 dst_sel:DWORD dst_unused:UNUSED_PAD src0_sel:WORD_0 src1_sel:DWORD
	v_lshrrev_b32_e32 v59, 21, v10
	v_mul_u32_u24_sdwa v10, v8, v9 dst_sel:DWORD dst_unused:UNUSED_PAD src0_sel:WORD_0 src1_sel:DWORD
	v_mul_u32_u24_sdwa v9, v6, v9 dst_sel:DWORD dst_unused:UNUSED_PAD src0_sel:WORD_0 src1_sel:DWORD
	v_mul_lo_u16 v57, v59, 33
	v_lshrrev_b32_e32 v60, 21, v10
	v_lshrrev_b32_e32 v61, 21, v9
	v_lshlrev_b32_e32 v9, 1, v0
	v_mov_b32_e32 v10, 0
	v_sub_nc_u16 v63, v4, v57
	v_mul_lo_u16 v64, v60, 33
	v_mul_lo_u16 v65, v61, 33
	v_lshlrev_b32_sdwa v69, v5, v63 dst_sel:DWORD dst_unused:UNUSED_PAD src0_sel:DWORD src1_sel:WORD_0
	v_lshlrev_b32_sdwa v63, v7, v63 dst_sel:DWORD dst_unused:UNUSED_PAD src0_sel:DWORD src1_sel:WORD_0
	s_waitcnt vmcnt(2) lgkmcnt(1)
	v_mul_f32_e32 v57, v53, v12
	v_mul_f32_e32 v70, v25, v12
	s_waitcnt lgkmcnt(0)
	v_mul_f32_e32 v12, v55, v14
	v_mul_f32_e32 v71, v29, v14
	s_waitcnt vmcnt(1)
	v_mul_f32_e32 v14, v54, v16
	v_fma_f32 v72, v25, v11, -v57
	v_fmac_f32_e32 v70, v53, v11
	v_mul_f32_e32 v11, v56, v18
	v_fma_f32 v73, v29, v13, -v12
	v_fmac_f32_e32 v71, v55, v13
	ds_read2_b32 v[57:58], v49 offset0:24 offset1:123
	v_mul_f32_e32 v55, v26, v16
	v_fma_f32 v75, v26, v15, -v14
	ds_read2_b32 v[25:26], v48 offset0:106 offset1:205
	v_fma_f32 v76, v30, v17, -v11
	global_load_dwordx4 v[11:14], v69, s[8:9] offset:176
	v_fmac_f32_e32 v55, v54, v15
	v_lshlrev_b64 v[15:16], 3, v[9:10]
	v_mul_f32_e32 v74, v30, v18
	v_sub_nc_u16 v29, v8, v64
	v_mov_b32_e32 v9, 0x18c
	v_sub_nc_u16 v30, v6, v65
	v_lshlrev_b32_sdwa v64, v7, v67 dst_sel:DWORD dst_unused:UNUSED_PAD src0_sel:DWORD src1_sel:BYTE_0
	v_add_co_u32 v53, s0, s8, v15
	v_fmac_f32_e32 v74, v56, v17
	v_add_co_ci_u32_e64 v54, s0, s9, v16, s0
	v_lshlrev_b32_sdwa v15, v5, v29 dst_sel:DWORD dst_unused:UNUSED_PAD src0_sel:DWORD src1_sel:WORD_0
	v_mul_u32_u24_sdwa v56, v62, v9 dst_sel:DWORD dst_unused:UNUSED_PAD src0_sel:WORD_0 src1_sel:DWORD
	s_waitcnt vmcnt(1) lgkmcnt(1)
	v_mul_f32_e32 v16, v57, v20
	v_mul_u32_u24_sdwa v9, v66, v9 dst_sel:DWORD dst_unused:UNUSED_PAD src0_sel:WORD_0 src1_sel:DWORD
	v_lshlrev_b32_sdwa v5, v5, v30 dst_sel:DWORD dst_unused:UNUSED_PAD src0_sel:DWORD src1_sel:WORD_0
	s_waitcnt lgkmcnt(0)
	v_mul_f32_e32 v17, v25, v22
	v_mul_f32_e32 v65, v33, v20
	v_mul_f32_e32 v66, v35, v22
	v_fma_f32 v33, v33, v19, -v16
	v_lshlrev_b32_sdwa v62, v7, v68 dst_sel:DWORD dst_unused:UNUSED_PAD src0_sel:DWORD src1_sel:BYTE_0
	v_fma_f32 v35, v35, v21, -v17
	global_load_dwordx4 v[15:18], v15, s[8:9] offset:176
	v_fmac_f32_e32 v65, v57, v19
	v_fmac_f32_e32 v66, v25, v21
	global_load_dwordx4 v[19:22], v5, s[8:9] offset:176
	v_mul_u32_u24_e32 v5, 0x18c, v27
	v_lshlrev_b32_sdwa v25, v7, v29 dst_sel:DWORD dst_unused:UNUSED_PAD src0_sel:DWORD src1_sel:WORD_0
	v_lshlrev_b32_sdwa v7, v7, v30 dst_sel:DWORD dst_unused:UNUSED_PAD src0_sel:DWORD src1_sel:WORD_0
	ds_read2_b32 v[29:30], v50 offset0:94 offset1:193
	v_add3_u32 v67, 0, v56, v62
	v_add3_u32 v5, 0, v5, v43
	v_mul_u32_u24_e32 v56, 0x18c, v59
	v_sub_f32_e32 v59, v55, v74
	v_add_f32_e32 v62, v31, v33
	v_add_f32_e32 v69, v33, v35
	v_sub_f32_e32 v33, v33, v35
	v_add3_u32 v63, 0, v56, v63
	v_mul_u32_u24_e32 v56, 0x18c, v60
	v_add_f32_e32 v35, v62, v35
	v_add3_u32 v9, 0, v9, v64
	v_mov_b32_e32 v64, 0xa57f
	v_add3_u32 v25, 0, v56, v25
	v_mul_u32_u24_sdwa v68, v28, v64 dst_sel:DWORD dst_unused:UNUSED_PAD src0_sel:WORD_0 src1_sel:DWORD
	s_waitcnt vmcnt(2)
	v_mul_f32_e32 v27, v58, v12
	v_mul_f32_e32 v43, v34, v12
	v_fma_f32 v27, v34, v11, -v27
	v_fmac_f32_e32 v43, v58, v11
	ds_read2_b32 v[11:12], v51 offset0:48 offset1:147
	v_mul_f32_e32 v34, v26, v14
	v_add_f32_e32 v58, v75, v76
	v_fma_f32 v34, v36, v13, -v34
	v_mul_f32_e32 v36, v36, v14
	v_mul_u32_u24_e32 v14, 0x18c, v61
	v_sub_f32_e32 v61, v75, v76
	v_fmac_f32_e32 v36, v26, v13
	v_add3_u32 v7, 0, v14, v7
	ds_read2_b32 v[13:14], v44 offset1:99
	s_waitcnt vmcnt(1) lgkmcnt(2)
	v_mul_f32_e32 v26, v29, v16
	v_mul_f32_e32 v56, v39, v16
	;; [unrolled: 1-line block ×3, first 2 shown]
	s_waitcnt lgkmcnt(1)
	v_mul_f32_e32 v16, v11, v18
	s_waitcnt vmcnt(0)
	v_mul_f32_e32 v18, v30, v20
	v_fma_f32 v26, v39, v15, -v26
	v_fmac_f32_e32 v56, v29, v15
	v_fmac_f32_e32 v57, v11, v17
	v_fma_f32 v29, v41, v17, -v16
	ds_read2_b32 v[15:16], v47 offset0:70 offset1:169
	v_mul_f32_e32 v11, v40, v20
	v_fma_f32 v20, v40, v19, -v18
	ds_read2_b32 v[17:18], v52 offset0:140 offset1:239
	v_mul_f32_e32 v39, v12, v22
	v_add_f32_e32 v40, v70, v71
	v_fmac_f32_e32 v11, v30, v19
	v_mul_f32_e32 v19, v42, v22
	s_waitcnt lgkmcnt(2)
	v_add_f32_e32 v60, v14, v55
	v_fma_f32 v22, v42, v21, -v39
	v_add_f32_e32 v39, v13, v70
	v_add_f32_e32 v55, v55, v74
	v_fmac_f32_e32 v19, v12, v21
	v_add_f32_e32 v12, v23, v72
	v_sub_f32_e32 v30, v70, v71
	v_add_f32_e32 v70, v39, v71
	v_fmac_f32_e32 v14, -0.5, v55
	v_sub_f32_e32 v55, v43, v36
	v_add_f32_e32 v21, v72, v73
	v_sub_f32_e32 v41, v72, v73
	s_waitcnt lgkmcnt(1)
	v_add_f32_e32 v71, v15, v65
	v_add_f32_e32 v62, v16, v43
	;; [unrolled: 1-line block ×7, first 2 shown]
	v_sub_f32_e32 v39, v65, v66
	v_add_f32_e32 v65, v65, v66
	v_fmac_f32_e32 v24, -0.5, v58
	v_add_f32_e32 v58, v32, v27
	v_add_f32_e32 v66, v71, v66
	;; [unrolled: 1-line block ×4, first 2 shown]
	s_waitcnt lgkmcnt(0)
	v_add_f32_e32 v36, v17, v56
	v_fmac_f32_e32 v16, -0.5, v43
	v_add_f32_e32 v43, v38, v20
	v_fmac_f32_e32 v32, -0.5, v60
	v_sub_f32_e32 v60, v56, v57
	v_add_f32_e32 v56, v56, v57
	v_add_f32_e32 v62, v20, v22
	v_sub_f32_e32 v27, v27, v34
	v_add_f32_e32 v34, v58, v34
	v_add_f32_e32 v58, v26, v29
	;; [unrolled: 3-line block ×3, first 2 shown]
	v_sub_f32_e32 v36, v11, v19
	v_sub_f32_e32 v20, v20, v22
	v_add_f32_e32 v22, v43, v22
	v_add_f32_e32 v43, v18, v11
	;; [unrolled: 1-line block ×3, first 2 shown]
	v_fma_f32 v21, -0.5, v21, v23
	v_fma_f32 v13, -0.5, v40, v13
	;; [unrolled: 1-line block ×5, first 2 shown]
	v_fmac_f32_e32 v38, -0.5, v62
	v_fma_f32 v31, -0.5, v58, v37
	v_fmac_f32_e32 v18, -0.5, v11
	v_fmamk_f32 v11, v30, 0x3f5db3d7, v21
	v_fmac_f32_e32 v21, 0xbf5db3d7, v30
	v_fmamk_f32 v30, v41, 0xbf5db3d7, v13
	v_fmac_f32_e32 v13, 0x3f5db3d7, v41
	v_add_f32_e32 v42, v42, v76
	v_add_f32_e32 v19, v43, v19
	v_fmamk_f32 v37, v59, 0x3f5db3d7, v24
	v_fmamk_f32 v43, v61, 0xbf5db3d7, v14
	v_fmac_f32_e32 v24, 0xbf5db3d7, v59
	v_fmac_f32_e32 v14, 0x3f5db3d7, v61
	v_fmamk_f32 v40, v39, 0x3f5db3d7, v23
	v_fmamk_f32 v65, v33, 0xbf5db3d7, v15
	v_fmac_f32_e32 v15, 0x3f5db3d7, v33
	v_fmamk_f32 v33, v55, 0x3f5db3d7, v32
	v_fmamk_f32 v74, v26, 0xbf5db3d7, v17
	v_fmac_f32_e32 v17, 0x3f5db3d7, v26
	v_fmamk_f32 v26, v36, 0x3f5db3d7, v38
	v_fmac_f32_e32 v38, 0xbf5db3d7, v36
	s_barrier
	buffer_gl0_inv
	v_fmac_f32_e32 v23, 0xbf5db3d7, v39
	v_fmac_f32_e32 v32, 0xbf5db3d7, v55
	v_fmamk_f32 v69, v27, 0xbf5db3d7, v16
	v_fmac_f32_e32 v16, 0x3f5db3d7, v27
	v_fmamk_f32 v27, v60, 0x3f5db3d7, v31
	;; [unrolled: 2-line block ×3, first 2 shown]
	v_fmac_f32_e32 v18, 0x3f5db3d7, v20
	ds_write2_b32 v67, v12, v11 offset1:33
	ds_write_b32 v67, v21 offset:264
	ds_write2_b32 v9, v42, v37 offset1:33
	ds_write_b32 v9, v24 offset:264
	;; [unrolled: 2-line block ×6, first 2 shown]
	s_waitcnt lgkmcnt(0)
	s_barrier
	buffer_gl0_inv
	ds_read2_b32 v[33:34], v44 offset1:99
	ds_read2_b32 v[35:36], v46 offset0:82 offset1:181
	ds_read2_b32 v[37:38], v1 offset0:36 offset1:135
	ds_read2_b32 v[39:40], v47 offset0:70 offset1:169
	ds_read2_b32 v[41:42], v49 offset0:24 offset1:123
	ds_read2_b32 v[55:56], v48 offset0:106 offset1:205
	ds_read2_b32 v[57:58], v52 offset0:140 offset1:239
	ds_read2_b32 v[59:60], v50 offset0:94 offset1:193
	ds_read2_b32 v[61:62], v51 offset0:48 offset1:147
	s_waitcnt lgkmcnt(0)
	s_barrier
	buffer_gl0_inv
	ds_write2_b32 v67, v70, v30 offset1:33
	ds_write_b32 v67, v13 offset:264
	ds_write2_b32 v9, v72, v43 offset1:33
	ds_write_b32 v9, v14 offset:264
	;; [unrolled: 2-line block ×6, first 2 shown]
	v_mul_u32_u24_sdwa v7, v4, v64 dst_sel:DWORD dst_unused:UNUSED_PAD src0_sel:WORD_0 src1_sel:DWORD
	v_lshrrev_b32_e32 v5, 22, v68
	s_waitcnt lgkmcnt(0)
	s_barrier
	buffer_gl0_inv
	v_lshrrev_b32_e32 v7, 22, v7
	global_load_dwordx4 v[11:14], v[53:54], off offset:704
	v_mul_lo_u16 v5, 0x63, v5
	v_mul_u32_u24_sdwa v19, v6, v64 dst_sel:DWORD dst_unused:UNUSED_PAD src0_sel:WORD_0 src1_sel:DWORD
	v_mul_lo_u16 v7, 0x63, v7
	v_sub_nc_u16 v5, v28, v5
	v_lshrrev_b32_e32 v23, 22, v19
	v_sub_nc_u16 v7, v4, v7
	v_and_b32_e32 v5, 0xffff, v5
	v_mul_lo_u16 v23, 0x63, v23
	v_and_b32_e32 v7, 0xffff, v7
	v_lshlrev_b32_e32 v9, 4, v5
	v_sub_nc_u16 v23, v6, v23
	v_lshl_add_u32 v5, v5, 2, 0
	v_lshlrev_b32_e32 v20, 4, v7
	v_lshl_add_u32 v7, v7, 2, 0
	global_load_dwordx4 v[15:18], v9, s[8:9] offset:704
	v_and_b32_e32 v43, 0xffff, v23
	global_load_dwordx4 v[19:22], v20, s[8:9] offset:704
	v_mul_u32_u24_sdwa v9, v8, v64 dst_sel:DWORD dst_unused:UNUSED_PAD src0_sel:WORD_0 src1_sel:DWORD
	v_lshlrev_b32_e32 v29, 4, v43
	v_lshrrev_b32_e32 v9, 22, v9
	v_mul_lo_u16 v9, 0x63, v9
	v_sub_nc_u16 v9, v8, v9
	v_and_b32_e32 v27, 0xffff, v9
	v_lshlrev_b32_e32 v9, 4, v27
	s_clause 0x1
	global_load_dwordx4 v[23:26], v9, s[8:9] offset:704
	global_load_dwordx4 v[29:32], v29, s[8:9] offset:704
	ds_read2_b32 v[63:64], v46 offset0:82 offset1:181
	ds_read2_b32 v[65:66], v1 offset0:36 offset1:135
	;; [unrolled: 1-line block ×3, first 2 shown]
	v_lshl_add_u32 v27, v27, 2, 0
	s_waitcnt vmcnt(4) lgkmcnt(2)
	v_mul_f32_e32 v9, v63, v12
	v_mul_f32_e32 v69, v64, v12
	;; [unrolled: 1-line block ×4, first 2 shown]
	s_waitcnt lgkmcnt(1)
	v_mul_f32_e32 v71, v65, v14
	v_fma_f32 v73, v35, v11, -v9
	v_fma_f32 v69, v36, v11, -v69
	v_fmac_f32_e32 v70, v63, v11
	v_fmac_f32_e32 v72, v64, v11
	ds_read2_b32 v[11:12], v48 offset0:106 offset1:205
	v_mul_f32_e32 v9, v66, v14
	v_mul_f32_e32 v63, v37, v14
	v_fma_f32 v64, v37, v13, -v71
	v_mul_f32_e32 v74, v38, v14
	v_add_co_u32 v35, s0, 0x800, v53
	v_fma_f32 v71, v38, v13, -v9
	v_lshlrev_b32_e32 v9, 1, v45
	v_fmac_f32_e32 v63, v65, v13
	v_fmac_f32_e32 v74, v66, v13
	v_add_co_ci_u32_e64 v36, s0, 0, v54, s0
	v_lshlrev_b64 v[13:14], 3, v[9:10]
	s_waitcnt vmcnt(3)
	v_mul_f32_e32 v53, v41, v16
	v_mul_f32_e32 v54, v55, v18
	v_sub_f32_e32 v66, v72, v74
	v_add_nc_u32_e32 v65, 0xc00, v7
	v_add_co_u32 v9, s0, s8, v13
	v_add_co_ci_u32_e64 v13, s0, s9, v14, s0
	s_waitcnt lgkmcnt(1)
	v_mul_f32_e32 v14, v67, v16
	s_waitcnt lgkmcnt(0)
	v_mul_f32_e32 v16, v11, v18
	v_add_co_u32 v37, s0, 0x800, v9
	v_add_co_ci_u32_e64 v38, s0, 0, v13, s0
	v_fma_f32 v9, v41, v15, -v14
	v_fmac_f32_e32 v53, v67, v15
	v_fma_f32 v41, v55, v17, -v16
	ds_read2_b32 v[13:14], v50 offset0:94 offset1:193
	ds_read2_b32 v[15:16], v51 offset0:48 offset1:147
	v_fmac_f32_e32 v54, v11, v17
	s_waitcnt vmcnt(2)
	v_mul_f32_e32 v11, v68, v20
	v_mul_f32_e32 v20, v42, v20
	v_fma_f32 v55, v42, v19, -v11
	v_mul_f32_e32 v11, v12, v22
	v_fmac_f32_e32 v20, v68, v19
	v_mul_f32_e32 v19, v56, v22
	v_add_f32_e32 v68, v72, v74
	v_lshl_add_u32 v22, v43, 2, 0
	v_fma_f32 v42, v56, v21, -v11
	v_add_nc_u32_e32 v43, 0x800, v5
	v_fmac_f32_e32 v19, v12, v21
	ds_read2_b32 v[11:12], v44 offset1:99
	s_waitcnt vmcnt(1)
	v_mul_f32_e32 v21, v59, v24
	s_waitcnt lgkmcnt(2)
	v_mul_f32_e32 v17, v13, v24
	s_waitcnt lgkmcnt(1)
	v_mul_f32_e32 v18, v15, v26
	v_mul_f32_e32 v24, v61, v26
	v_fmac_f32_e32 v21, v13, v23
	s_waitcnt vmcnt(0)
	v_mul_f32_e32 v26, v14, v30
	v_fma_f32 v56, v59, v23, -v17
	v_fma_f32 v23, v61, v25, -v18
	v_fmac_f32_e32 v24, v15, v25
	v_mul_f32_e32 v15, v60, v30
	ds_read2_b32 v[17:18], v47 offset0:70 offset1:169
	v_mul_f32_e32 v25, v16, v32
	v_mul_f32_e32 v30, v62, v32
	v_add_f32_e32 v59, v70, v63
	v_fmac_f32_e32 v15, v14, v29
	ds_read2_b32 v[13:14], v52 offset0:140 offset1:239
	v_fma_f32 v25, v62, v31, -v25
	v_fmac_f32_e32 v30, v16, v31
	v_add_f32_e32 v16, v33, v73
	v_sub_f32_e32 v31, v70, v63
	s_waitcnt lgkmcnt(2)
	v_add_f32_e32 v32, v11, v70
	v_add_f32_e32 v70, v39, v9
	v_fma_f32 v26, v60, v29, -v26
	v_add_f32_e32 v29, v73, v64
	v_sub_f32_e32 v60, v73, v64
	v_add_f32_e32 v61, v34, v69
	v_add_f32_e32 v16, v16, v64
	;; [unrolled: 1-line block ×3, first 2 shown]
	v_sub_f32_e32 v9, v9, v41
	v_add_f32_e32 v41, v70, v41
	s_waitcnt lgkmcnt(1)
	v_add_f32_e32 v70, v18, v20
	v_add_f32_e32 v62, v69, v71
	;; [unrolled: 1-line block ×3, first 2 shown]
	v_sub_f32_e32 v69, v69, v71
	v_add_f32_e32 v61, v61, v71
	v_add_f32_e32 v71, v17, v53
	;; [unrolled: 1-line block ×3, first 2 shown]
	v_fmac_f32_e32 v12, -0.5, v68
	v_sub_f32_e32 v68, v20, v19
	v_add_f32_e32 v20, v20, v19
	v_add_f32_e32 v19, v70, v19
	s_waitcnt lgkmcnt(0)
	v_add_f32_e32 v70, v13, v21
	v_add_f32_e32 v32, v32, v63
	v_sub_f32_e32 v63, v53, v54
	v_add_f32_e32 v53, v53, v54
	v_fmac_f32_e32 v34, -0.5, v62
	v_add_f32_e32 v62, v40, v55
	v_add_f32_e32 v71, v71, v54
	;; [unrolled: 1-line block ×3, first 2 shown]
	v_fmac_f32_e32 v40, -0.5, v72
	v_sub_f32_e32 v72, v21, v24
	v_add_f32_e32 v21, v21, v24
	v_fmac_f32_e32 v18, -0.5, v20
	v_add_f32_e32 v20, v58, v26
	v_add_f32_e32 v70, v70, v24
	;; [unrolled: 1-line block ×3, first 2 shown]
	v_sub_f32_e32 v55, v55, v42
	v_add_f32_e32 v42, v62, v42
	v_add_f32_e32 v62, v56, v23
	v_sub_f32_e32 v56, v56, v23
	v_add_f32_e32 v23, v54, v23
	v_add_f32_e32 v54, v26, v25
	v_sub_f32_e32 v26, v26, v25
	v_add_f32_e32 v20, v20, v25
	v_sub_f32_e32 v25, v15, v30
	v_add_f32_e32 v15, v15, v30
	v_add_f32_e32 v30, v24, v30
	v_fma_f32 v24, -0.5, v29, v33
	v_fma_f32 v29, -0.5, v64, v39
	v_fma_f32 v17, -0.5, v53, v17
	v_fmac_f32_e32 v58, -0.5, v54
	v_fma_f32 v11, -0.5, v59, v11
	v_fma_f32 v33, -0.5, v62, v57
	v_fmac_f32_e32 v14, -0.5, v15
	v_fmamk_f32 v15, v31, 0x3f5db3d7, v24
	v_fmac_f32_e32 v24, 0xbf5db3d7, v31
	v_fmamk_f32 v31, v66, 0x3f5db3d7, v34
	v_fmac_f32_e32 v34, 0xbf5db3d7, v66
	v_fmamk_f32 v39, v63, 0x3f5db3d7, v29
	v_fma_f32 v13, -0.5, v21, v13
	v_fmac_f32_e32 v29, 0xbf5db3d7, v63
	v_fmamk_f32 v63, v9, 0xbf5db3d7, v17
	v_fmac_f32_e32 v17, 0x3f5db3d7, v9
	v_fmamk_f32 v9, v68, 0x3f5db3d7, v40
	v_add_f32_e32 v67, v67, v74
	v_add_nc_u32_e32 v73, 0x1200, v27
	v_add_nc_u32_e32 v74, 0x1600, v22
	s_barrier
	buffer_gl0_inv
	v_fmamk_f32 v21, v60, 0xbf5db3d7, v11
	v_fmac_f32_e32 v40, 0xbf5db3d7, v68
	v_fmamk_f32 v53, v72, 0x3f5db3d7, v33
	v_fmac_f32_e32 v33, 0xbf5db3d7, v72
	;; [unrolled: 2-line block ×3, first 2 shown]
	ds_write2_b32 v44, v16, v15 offset1:99
	ds_write2_b32 v47, v24, v61 offset0:70 offset1:169
	ds_write2_b32 v52, v31, v34 offset0:140 offset1:239
	;; [unrolled: 1-line block ×3, first 2 shown]
	ds_write_b32 v5, v29 offset:3168
	ds_write2_b32 v65, v42, v9 offset0:123 offset1:222
	ds_write_b32 v7, v40 offset:4356
	ds_write2_b32 v73, v23, v53 offset0:36 offset1:135
	;; [unrolled: 2-line block ×3, first 2 shown]
	ds_write_b32 v22, v58 offset:6732
	v_lshlrev_b32_e32 v9, 1, v28
	v_fmac_f32_e32 v11, 0x3f5db3d7, v60
	v_fmamk_f32 v62, v69, 0xbf5db3d7, v12
	v_fmac_f32_e32 v12, 0x3f5db3d7, v69
	v_fmamk_f32 v64, v55, 0xbf5db3d7, v18
	;; [unrolled: 2-line block ×4, first 2 shown]
	v_fmac_f32_e32 v14, 0x3f5db3d7, v26
	s_waitcnt lgkmcnt(0)
	s_barrier
	buffer_gl0_inv
	ds_read2_b32 v[23:24], v44 offset1:99
	ds_read2_b32 v[25:26], v46 offset0:82 offset1:181
	ds_read2_b32 v[33:34], v1 offset0:36 offset1:135
	;; [unrolled: 1-line block ×8, first 2 shown]
	s_waitcnt lgkmcnt(0)
	s_barrier
	buffer_gl0_inv
	ds_write2_b32 v44, v32, v21 offset1:99
	ds_write2_b32 v47, v11, v67 offset0:70 offset1:169
	ds_write2_b32 v52, v62, v12 offset0:140 offset1:239
	;; [unrolled: 1-line block ×3, first 2 shown]
	ds_write_b32 v5, v17 offset:3168
	ds_write2_b32 v65, v19, v64 offset0:123 offset1:222
	ds_write_b32 v7, v18 offset:4356
	ds_write2_b32 v73, v70, v66 offset0:36 offset1:135
	;; [unrolled: 2-line block ×3, first 2 shown]
	ds_write_b32 v22, v14 offset:6732
	s_waitcnt lgkmcnt(0)
	s_barrier
	buffer_gl0_inv
	s_clause 0x1
	global_load_dwordx4 v[11:14], v[35:36], off offset:240
	global_load_dwordx4 v[15:18], v[37:38], off offset:240
	v_lshlrev_b64 v[19:20], 3, v[9:10]
	v_add_nc_u32_e32 v30, 0x1000, v44
	v_add_nc_u32_e32 v31, 0x1600, v44
	v_add_co_u32 v5, s0, s8, v19
	v_add_co_ci_u32_e64 v7, s0, s9, v20, s0
	v_add_co_u32 v19, s0, 0x800, v5
	v_add_co_ci_u32_e64 v20, s0, 0, v7, s0
	v_lshl_add_u32 v5, v0, 2, 0
	global_load_dwordx4 v[19:22], v[19:20], off offset:240
	ds_read2_b32 v[35:36], v46 offset0:82 offset1:181
	ds_read2_b32 v[37:38], v1 offset0:36 offset1:135
	;; [unrolled: 1-line block ×4, first 2 shown]
	v_add_nc_u32_e32 v32, 0xa00, v5
	ds_read2_b32 v[65:66], v44 offset1:99
	ds_read2_b32 v[67:68], v50 offset0:94 offset1:193
	s_waitcnt vmcnt(2) lgkmcnt(5)
	v_mul_f32_e32 v5, v35, v12
	v_mul_f32_e32 v7, v25, v12
	s_waitcnt lgkmcnt(4)
	v_mul_f32_e32 v9, v37, v14
	s_waitcnt lgkmcnt(3)
	v_mul_f32_e32 v43, v62, v12
	v_mul_f32_e32 v72, v42, v12
	s_waitcnt lgkmcnt(2)
	v_mul_f32_e32 v12, v64, v14
	v_mul_f32_e32 v27, v33, v14
	v_fma_f32 v5, v25, v11, -v5
	v_fmac_f32_e32 v7, v35, v11
	v_fma_f32 v9, v33, v13, -v9
	v_fma_f32 v25, v42, v11, -v43
	v_fmac_f32_e32 v72, v62, v11
	v_fma_f32 v33, v54, v13, -v12
	ds_read2_b32 v[11:12], v51 offset0:48 offset1:147
	ds_read2_b32 v[42:43], v47 offset0:70 offset1:169
	s_waitcnt vmcnt(1)
	v_mul_f32_e32 v29, v36, v16
	v_mul_f32_e32 v14, v54, v14
	;; [unrolled: 1-line block ×3, first 2 shown]
	v_fmac_f32_e32 v27, v37, v13
	ds_read2_b32 v[69:70], v52 offset0:140 offset1:239
	s_waitcnt vmcnt(0) lgkmcnt(0)
	v_fmac_f32_e32 v14, v64, v13
	v_fma_f32 v13, v26, v15, -v29
	v_mul_f32_e32 v26, v38, v18
	v_fmac_f32_e32 v71, v36, v15
	v_mul_f32_e32 v29, v34, v18
	v_mul_f32_e32 v36, v63, v22
	;; [unrolled: 1-line block ×3, first 2 shown]
	v_fma_f32 v26, v34, v17, -v26
	v_mul_f32_e32 v34, v61, v20
	v_fmac_f32_e32 v29, v38, v17
	v_mul_f32_e32 v37, v53, v22
	v_mul_f32_e32 v38, v67, v16
	;; [unrolled: 1-line block ×3, first 2 shown]
	v_fma_f32 v34, v41, v19, -v34
	v_mul_f32_e32 v41, v11, v18
	v_mul_f32_e32 v18, v59, v18
	v_fma_f32 v36, v53, v21, -v36
	v_mul_f32_e32 v53, v68, v20
	v_mul_f32_e32 v54, v12, v22
	v_fmac_f32_e32 v35, v61, v19
	v_mul_f32_e32 v61, v60, v22
	v_mul_f32_e32 v20, v58, v20
	v_fma_f32 v22, v57, v15, -v38
	v_fmac_f32_e32 v16, v67, v15
	v_fma_f32 v15, v59, v17, -v41
	v_fmac_f32_e32 v18, v11, v17
	v_fma_f32 v11, v58, v19, -v53
	v_fma_f32 v17, v60, v21, -v54
	v_add_f32_e32 v38, v65, v7
	v_add_f32_e32 v57, v66, v71
	v_fmac_f32_e32 v37, v63, v21
	v_fmac_f32_e32 v61, v12, v21
	v_add_f32_e32 v12, v23, v5
	v_fmac_f32_e32 v20, v68, v19
	v_add_f32_e32 v19, v5, v9
	v_sub_f32_e32 v21, v7, v27
	v_add_f32_e32 v7, v7, v27
	v_add_f32_e32 v41, v24, v13
	;; [unrolled: 1-line block ×4, first 2 shown]
	v_sub_f32_e32 v54, v71, v29
	v_add_f32_e32 v58, v71, v29
	v_add_f32_e32 v59, v39, v34
	;; [unrolled: 1-line block ×10, first 2 shown]
	v_sub_f32_e32 v62, v35, v37
	v_add_f32_e32 v35, v35, v37
	v_sub_f32_e32 v68, v72, v14
	v_add_f32_e32 v72, v72, v14
	;; [unrolled: 2-line block ×3, first 2 shown]
	v_add_f32_e32 v12, v55, v22
	v_sub_f32_e32 v73, v22, v15
	v_add_f32_e32 v22, v56, v11
	v_sub_f32_e32 v13, v13, v26
	;; [unrolled: 2-line block ×3, first 2 shown]
	v_fmac_f32_e32 v24, -0.5, v53
	v_add_f32_e32 v53, v69, v16
	v_add_f32_e32 v16, v16, v18
	;; [unrolled: 1-line block ×3, first 2 shown]
	v_sub_f32_e32 v63, v11, v17
	v_fma_f32 v11, -0.5, v19, v23
	v_fma_f32 v7, -0.5, v7, v65
	v_sub_f32_e32 v34, v34, v36
	v_sub_f32_e32 v25, v25, v33
	v_fmac_f32_e32 v66, -0.5, v58
	v_add_f32_e32 v36, v59, v36
	v_sub_f32_e32 v58, v20, v61
	v_add_f32_e32 v59, v70, v20
	v_add_f32_e32 v20, v20, v61
	v_fma_f32 v19, -0.5, v60, v39
	v_add_f32_e32 v23, v64, v33
	v_fmac_f32_e32 v40, -0.5, v67
	v_add_f32_e32 v33, v71, v14
	v_fma_f32 v14, -0.5, v27, v55
	v_fmac_f32_e32 v56, -0.5, v29
	v_fma_f32 v35, -0.5, v35, v42
	v_fmac_f32_e32 v43, -0.5, v72
	v_add_f32_e32 v12, v12, v15
	v_add_f32_e32 v15, v22, v17
	;; [unrolled: 1-line block ×3, first 2 shown]
	v_fma_f32 v42, -0.5, v16, v69
	v_fmamk_f32 v16, v21, 0x3f5db3d7, v11
	v_fmac_f32_e32 v11, 0xbf5db3d7, v21
	v_fmamk_f32 v53, v5, 0xbf5db3d7, v7
	v_fmac_f32_e32 v7, 0x3f5db3d7, v5
	;; [unrolled: 2-line block ×3, first 2 shown]
	v_fmac_f32_e32 v70, -0.5, v20
	v_fmamk_f32 v54, v13, 0xbf5db3d7, v66
	v_fmac_f32_e32 v66, 0x3f5db3d7, v13
	v_fmamk_f32 v13, v62, 0x3f5db3d7, v19
	v_fmac_f32_e32 v19, 0xbf5db3d7, v62
	v_fmamk_f32 v17, v68, 0x3f5db3d7, v40
	v_fmamk_f32 v18, v41, 0x3f5db3d7, v14
	v_fmac_f32_e32 v14, 0xbf5db3d7, v41
	v_fmamk_f32 v20, v58, 0x3f5db3d7, v56
	s_barrier
	buffer_gl0_inv
	v_fmamk_f32 v55, v34, 0xbf5db3d7, v35
	v_fmac_f32_e32 v35, 0x3f5db3d7, v34
	v_fmac_f32_e32 v40, 0xbf5db3d7, v68
	v_fmamk_f32 v34, v25, 0xbf5db3d7, v43
	v_fmac_f32_e32 v43, 0x3f5db3d7, v25
	v_fmac_f32_e32 v56, 0xbf5db3d7, v58
	ds_write2_b32 v44, v9, v26 offset1:99
	ds_write2_b32 v50, v12, v15 offset0:94 offset1:193
	ds_write2_b32 v46, v11, v24 offset0:82 offset1:181
	;; [unrolled: 1-line block ×8, first 2 shown]
	s_waitcnt lgkmcnt(0)
	s_barrier
	buffer_gl0_inv
	ds_read2_b32 v[11:12], v44 offset1:99
	ds_read2_b32 v[19:20], v49 offset0:123 offset1:222
	ds_read2_b32 v[13:14], v47 offset0:70 offset1:169
	;; [unrolled: 1-line block ×7, first 2 shown]
	ds_read_b32 v27, v44 offset:2376
	ds_read_b32 v29, v44 offset:6732
	v_fmamk_f32 v41, v73, 0xbf5db3d7, v42
	v_fmac_f32_e32 v42, 0x3f5db3d7, v73
	v_add_f32_e32 v5, v59, v61
	v_fmamk_f32 v9, v63, 0xbf5db3d7, v70
	v_fmac_f32_e32 v70, 0x3f5db3d7, v63
	s_waitcnt lgkmcnt(0)
	s_barrier
	buffer_gl0_inv
	ds_write2_b32 v44, v38, v57 offset1:99
	ds_write2_b32 v46, v7, v66 offset0:82 offset1:181
	ds_write2_b32 v47, v37, v53 offset0:70 offset1:169
	;; [unrolled: 1-line block ×8, first 2 shown]
	s_waitcnt lgkmcnt(0)
	s_barrier
	buffer_gl0_inv
	s_and_saveexec_b32 s0, vcc_lo
	s_cbranch_execz .LBB0_19
; %bb.18:
	v_add_nc_u32_e32 v33, 0x2b5, v0
	v_mov_b32_e32 v34, v10
	v_add_nc_u32_e32 v36, 0x252, v0
	v_mov_b32_e32 v37, v10
	v_mov_b32_e32 v7, v10
	;; [unrolled: 1-line block ×3, first 2 shown]
	v_lshlrev_b64 v[34:35], 3, v[33:34]
	v_mad_u64_u32 v[60:61], null, s2, v0, 0
	v_lshlrev_b64 v[39:40], 3, v[6:7]
	v_lshlrev_b64 v[41:42], 3, v[8:9]
	v_mad_u64_u32 v[64:65], null, s2, v28, 0
	v_add_co_u32 v1, vcc_lo, s8, v34
	v_add_co_ci_u32_e32 v5, vcc_lo, s9, v35, vcc_lo
	v_lshlrev_b64 v[34:35], 3, v[36:37]
	v_add_co_u32 v37, vcc_lo, 0x1800, v1
	v_add_co_ci_u32_e32 v38, vcc_lo, 0, v5, vcc_lo
	v_add_nc_u32_e32 v43, 0x441, v0
	v_add_co_u32 v1, vcc_lo, s8, v34
	v_add_co_ci_u32_e32 v5, vcc_lo, s9, v35, vcc_lo
	v_add_nc_u32_e32 v72, 0x5cd, v0
	v_add_co_u32 v34, vcc_lo, 0x1800, v1
	v_add_co_ci_u32_e32 v35, vcc_lo, 0, v5, vcc_lo
	v_add_co_u32 v1, vcc_lo, s8, v39
	v_add_co_ci_u32_e32 v5, vcc_lo, s9, v40, vcc_lo
	;; [unrolled: 2-line block ×4, first 2 shown]
	v_mov_b32_e32 v5, v10
	s_clause 0x1
	global_load_dwordx2 v[37:38], v[37:38], off offset:896
	global_load_dwordx2 v[34:35], v[34:35], off offset:896
	v_add_co_u32 v41, vcc_lo, 0x1800, v7
	v_mov_b32_e32 v1, v10
	v_add_co_ci_u32_e32 v42, vcc_lo, 0, v9, vcc_lo
	v_lshlrev_b64 v[46:47], 3, v[4:5]
	s_clause 0x1
	global_load_dwordx2 v[39:40], v[39:40], off offset:896
	global_load_dwordx2 v[41:42], v[41:42], off offset:896
	v_lshlrev_b64 v[48:49], 3, v[0:1]
	v_add_co_u32 v1, vcc_lo, s8, v46
	v_add_co_ci_u32_e32 v5, vcc_lo, s9, v47, vcc_lo
	v_add_co_u32 v7, vcc_lo, s8, v48
	v_add_co_ci_u32_e32 v9, vcc_lo, s9, v49, vcc_lo
	;; [unrolled: 2-line block ×4, first 2 shown]
	s_clause 0x1
	global_load_dwordx2 v[46:47], v[46:47], off offset:896
	global_load_dwordx2 v[48:49], v[48:49], off offset:432
	v_add_co_u32 v50, vcc_lo, 0x1800, v7
	v_add_co_ci_u32_e32 v51, vcc_lo, 0, v9, vcc_lo
	s_clause 0x1
	global_load_dwordx2 v[52:53], v[50:51], off offset:1688
	global_load_dwordx2 v[50:51], v[50:51], off offset:896
	v_add_nc_u32_e32 v9, 0x318, v0
	v_mul_hi_u32 v7, 0x931b4b91, v8
	v_lshlrev_b64 v[54:55], 3, v[9:10]
	v_add_nc_u32_e32 v10, 0x37b, v0
	v_lshrrev_b32_e32 v7, 9, v7
	v_add_co_u32 v1, vcc_lo, s8, v54
	v_add_co_ci_u32_e32 v5, vcc_lo, s9, v55, vcc_lo
	v_mad_u32_u24 v76, 0x37b, v7, v8
	v_add_co_u32 v54, vcc_lo, 0x1800, v1
	v_add_co_ci_u32_e32 v55, vcc_lo, 0, v5, vcc_lo
	v_add_nc_u32_e32 v1, 0x1400, v44
	v_add_co_u32 v74, vcc_lo, s12, v2
	global_load_dwordx2 v[54:55], v[54:55], off offset:896
	ds_read2_b32 v[56:57], v31 offset0:77 offset1:176
	ds_read2_b32 v[31:32], v32 offset0:53 offset1:152
	ds_read_b32 v66, v44 offset:6732
	ds_read_b32 v73, v44 offset:2376
	ds_read2_b32 v[58:59], v30 offset0:65 offset1:164
	ds_read2_b32 v[62:63], v1 offset0:7 offset1:106
	v_add_co_ci_u32_e32 v75, vcc_lo, s13, v3, vcc_lo
	v_mad_u64_u32 v[1:2], null, s2, v45, 0
	v_add_nc_u32_e32 v30, 0x3de, v0
	s_waitcnt vmcnt(8) lgkmcnt(5)
	v_mul_f32_e32 v67, v37, v57
	v_mul_f32_e32 v3, v38, v57
	s_waitcnt vmcnt(7)
	v_mul_f32_e32 v5, v35, v56
	v_mul_f32_e32 v57, v34, v56
	v_add_nc_u32_e32 v56, 0x4a4, v0
	v_fmac_f32_e32 v67, v26, v38
	v_fma_f32 v68, v26, v37, -v3
	v_mad_u64_u32 v[37:38], null, s2, v4, 0
	v_fma_f32 v69, v25, v34, -v5
	s_waitcnt vmcnt(6) lgkmcnt(0)
	v_mul_f32_e32 v3, v40, v63
	s_waitcnt vmcnt(5)
	v_mul_f32_e32 v5, v42, v62
	v_mul_f32_e32 v70, v39, v63
	;; [unrolled: 1-line block ×3, first 2 shown]
	v_mul_hi_u32 v26, 0x931b4b91, v6
	v_fma_f32 v62, v24, v39, -v3
	v_fma_f32 v71, v23, v41, -v5
	v_mov_b32_e32 v3, v61
	v_mov_b32_e32 v5, v38
	v_fmac_f32_e32 v70, v24, v40
	v_fmac_f32_e32 v63, v23, v42
	;; [unrolled: 1-line block ×3, first 2 shown]
	v_mad_u64_u32 v[23:24], null, s3, v0, v[3:4]
	v_mad_u64_u32 v[3:4], null, s3, v4, v[5:6]
	v_mov_b32_e32 v0, v2
	v_mad_u64_u32 v[24:25], null, s2, v36, 0
	v_mov_b32_e32 v2, v65
	v_lshrrev_b32_e32 v26, 9, v26
	v_mad_u64_u32 v[4:5], null, s3, v45, v[0:1]
	s_waitcnt vmcnt(4)
	v_mul_f32_e32 v0, v47, v59
	v_mad_u64_u32 v[7:8], null, s3, v28, v[2:3]
	v_mad_u32_u24 v28, 0x37b, v26, v6
	v_mul_f32_e32 v77, v46, v59
	s_waitcnt vmcnt(3)
	v_mul_f32_e32 v78, v48, v58
	v_mul_f32_e32 v2, v49, v58
	v_mad_u64_u32 v[5:6], null, s2, v10, 0
	v_fma_f32 v79, v22, v46, -v0
	v_mov_b32_e32 v0, v25
	v_fmac_f32_e32 v77, v22, v47
	v_fmac_f32_e32 v78, v21, v49
	v_fma_f32 v80, v21, v48, -v2
	v_mad_u64_u32 v[21:22], null, s2, v30, 0
	v_mad_u64_u32 v[25:26], null, s3, v36, v[0:1]
	v_mov_b32_e32 v0, v6
	v_mul_hi_u32 v8, 0x931b4b91, v9
	v_mov_b32_e32 v61, v23
	v_mul_hi_u32 v34, 0x931b4b91, v33
	v_mov_b32_e32 v6, v22
	v_mad_u64_u32 v[22:23], null, s3, v10, v[0:1]
	v_add_nc_u32_e32 v10, 0xc00, v44
	v_lshlrev_b64 v[47:48], 3, v[60:61]
	v_lshrrev_b32_e32 v8, 9, v8
	v_mov_b32_e32 v65, v7
	v_lshrrev_b32_e32 v2, 9, v34
	ds_read2_b32 v[39:40], v10 offset0:123 offset1:222
	v_mad_u64_u32 v[34:35], null, s2, v43, 0
	v_mad_u32_u24 v81, 0x37b, v8, v9
	v_mad_u64_u32 v[8:9], null, s2, v56, 0
	v_mad_u32_u24 v58, 0x37b, v2, v33
	v_mov_b32_e32 v2, v4
	v_mad_u64_u32 v[45:46], null, s2, v28, 0
	v_mov_b32_e32 v0, v35
	v_mad_u64_u32 v[35:36], null, s3, v30, v[6:7]
	v_mov_b32_e32 v4, v9
	v_mov_b32_e32 v6, v22
	v_mad_u64_u32 v[9:10], null, s3, v43, v[0:1]
	v_mov_b32_e32 v38, v3
	v_mad_u64_u32 v[41:42], null, s3, v56, v[4:5]
	s_waitcnt vmcnt(2) lgkmcnt(0)
	v_mul_f32_e32 v0, v53, v40
	v_mad_u64_u32 v[42:43], null, s2, v76, 0
	v_mul_f32_e32 v82, v52, v40
	v_mov_b32_e32 v22, v35
	v_mov_b32_e32 v35, v9
	v_mov_b32_e32 v9, v41
	v_fma_f32 v84, v20, v52, -v0
	v_lshlrev_b64 v[0:1], 3, v[1:2]
	s_waitcnt vmcnt(1)
	v_mul_f32_e32 v7, v51, v39
	v_mad_u64_u32 v[3:4], null, s2, v72, 0
	v_fmac_f32_e32 v82, v20, v53
	v_lshlrev_b64 v[52:53], 3, v[64:65]
	v_add_co_u32 v47, vcc_lo, v74, v47
	v_mul_f32_e32 v83, v50, v39
	v_mov_b32_e32 v2, v43
	v_lshlrev_b64 v[8:9], 3, v[8:9]
	v_add_co_ci_u32_e32 v48, vcc_lo, v75, v48, vcc_lo
	v_lshlrev_b64 v[36:37], 3, v[37:38]
	v_fma_f32 v85, v19, v50, -v7
	v_mov_b32_e32 v7, v46
	v_add_co_u32 v0, vcc_lo, v74, v0
	v_add_nc_u32_e32 v30, 0x37b, v76
	v_add_co_ci_u32_e32 v1, vcc_lo, v75, v1, vcc_lo
	v_lshlrev_b64 v[5:6], 3, v[5:6]
	v_add_co_u32 v49, vcc_lo, v74, v52
	v_fmac_f32_e32 v83, v19, v51
	v_lshlrev_b64 v[19:20], 3, v[21:22]
	v_lshlrev_b64 v[21:22], 3, v[34:35]
	v_mad_u64_u32 v[33:34], null, s3, v76, v[2:3]
	v_mad_u64_u32 v[34:35], null, s3, v28, v[7:8]
	v_add_co_ci_u32_e32 v50, vcc_lo, v75, v53, vcc_lo
	v_add_co_u32 v35, vcc_lo, v74, v36
	v_mad_u64_u32 v[39:40], null, s2, v30, 0
	v_add_co_ci_u32_e32 v36, vcc_lo, v75, v37, vcc_lo
	v_add_co_u32 v5, vcc_lo, v74, v5
	v_add_co_ci_u32_e32 v6, vcc_lo, v75, v6, vcc_lo
	v_add_co_u32 v19, vcc_lo, v74, v19
	v_add_co_ci_u32_e32 v20, vcc_lo, v75, v20, vcc_lo
	v_add_nc_u32_e32 v41, 0x37b, v28
	v_mov_b32_e32 v2, v40
	v_add_co_u32 v21, vcc_lo, v74, v21
	v_add_co_ci_u32_e32 v22, vcc_lo, v75, v22, vcc_lo
	v_add_co_u32 v7, vcc_lo, v74, v8
	v_add_nc_u32_e32 v23, 0x400, v44
	v_add_nc_u32_e32 v26, 0x200, v44
	v_add_co_ci_u32_e32 v8, vcc_lo, v75, v9, vcc_lo
	v_mad_u64_u32 v[9:10], null, s2, v41, 0
	v_mad_u64_u32 v[37:38], null, s3, v30, v[2:3]
	s_waitcnt vmcnt(0)
	v_mul_f32_e32 v30, v54, v66
	v_mul_f32_e32 v2, v55, v66
	v_mov_b32_e32 v43, v33
	v_mad_u64_u32 v[51:52], null, s2, v58, 0
	v_fmac_f32_e32 v30, v29, v55
	v_fma_f32 v59, v29, v54, -v2
	ds_read2_b32 v[28:29], v44 offset1:99
	ds_read2_b32 v[53:54], v23 offset0:140 offset1:239
	ds_read2_b32 v[55:56], v26 offset0:70 offset1:169
	v_mov_b32_e32 v2, v10
	v_mov_b32_e32 v46, v34
	v_lshlrev_b64 v[23:24], 3, v[24:25]
	v_mov_b32_e32 v40, v37
	v_mad_u64_u32 v[37:38], null, s3, v72, v[4:5]
	v_mad_u64_u32 v[33:34], null, s3, v41, v[2:3]
	v_lshlrev_b64 v[41:42], 3, v[42:43]
	v_mov_b32_e32 v2, v52
	v_add_co_u32 v23, vcc_lo, v74, v23
	v_add_co_ci_u32_e32 v24, vcc_lo, v75, v24, vcc_lo
	v_mov_b32_e32 v10, v33
	v_lshlrev_b64 v[33:34], 3, v[45:46]
	v_lshlrev_b64 v[38:39], 3, v[39:40]
	v_add_co_u32 v40, vcc_lo, v74, v41
	v_mad_u64_u32 v[25:26], null, s3, v58, v[2:3]
	v_add_nc_u32_e32 v4, 0x37b, v58
	v_add_co_ci_u32_e32 v41, vcc_lo, v75, v42, vcc_lo
	v_sub_f32_e32 v42, v18, v59
	v_sub_f32_e32 v45, v31, v67
	;; [unrolled: 1-line block ×4, first 2 shown]
	s_waitcnt lgkmcnt(1)
	v_sub_f32_e32 v60, v54, v70
	v_sub_f32_e32 v59, v16, v62
	v_sub_f32_e32 v62, v53, v63
	v_sub_f32_e32 v63, v14, v79
	s_waitcnt lgkmcnt(0)
	v_sub_f32_e32 v66, v55, v78
	v_sub_f32_e32 v67, v12, v84
	v_sub_f32_e32 v70, v28, v83
	v_sub_f32_e32 v69, v11, v85
	v_lshlrev_b64 v[9:10], 3, v[9:10]
	v_add_co_u32 v33, vcc_lo, v74, v33
	v_sub_f32_e32 v44, v17, v68
	v_sub_f32_e32 v68, v29, v82
	v_add_co_ci_u32_e32 v34, vcc_lo, v75, v34, vcc_lo
	v_sub_f32_e32 v65, v13, v80
	v_add_co_u32 v38, vcc_lo, v74, v38
	v_sub_f32_e32 v43, v32, v30
	v_sub_f32_e32 v61, v15, v71
	;; [unrolled: 1-line block ×3, first 2 shown]
	v_fma_f32 v30, v27, 2.0, -v57
	v_fma_f32 v27, v54, 2.0, -v60
	;; [unrolled: 1-line block ×7, first 2 shown]
	v_mad_u64_u32 v[11:12], null, s2, v4, 0
	v_add_co_ci_u32_e32 v39, vcc_lo, v75, v39, vcc_lo
	v_fma_f32 v29, v29, 2.0, -v68
	v_add_co_u32 v9, vcc_lo, v74, v9
	v_fma_f32 v13, v13, 2.0, -v65
	v_add_co_ci_u32_e32 v10, vcc_lo, v75, v10, vcc_lo
	v_fma_f32 v26, v16, 2.0, -v59
	v_fma_f32 v16, v53, 2.0, -v62
	;; [unrolled: 1-line block ×4, first 2 shown]
	global_store_dwordx2 v[47:48], v[54:55], off
	global_store_dwordx2 v[5:6], v[69:70], off
	;; [unrolled: 1-line block ×12, first 2 shown]
	v_mad_u64_u32 v[1:2], null, s2, v81, 0
	v_mov_b32_e32 v0, v12
	v_add_nc_u32_e32 v10, 0x37b, v81
	v_mov_b32_e32 v52, v25
	v_fma_f32 v71, v18, 2.0, -v42
	v_fma_f32 v18, v31, 2.0, -v45
	;; [unrolled: 1-line block ×3, first 2 shown]
	v_mad_u64_u32 v[5:6], null, s3, v4, v[0:1]
	v_mad_u64_u32 v[6:7], null, s2, v10, 0
	v_mov_b32_e32 v4, v37
	v_mov_b32_e32 v0, v2
	v_lshlrev_b64 v[13:14], 3, v[51:52]
	v_fma_f32 v17, v17, 2.0, -v44
	v_mov_b32_e32 v12, v5
	v_lshlrev_b64 v[2:3], 3, v[3:4]
	v_mad_u64_u32 v[4:5], null, s3, v81, v[0:1]
	v_mov_b32_e32 v0, v7
	v_fma_f32 v72, v32, 2.0, -v43
	global_store_dwordx2 v[23:24], v[30:31], off
	v_add_co_u32 v8, vcc_lo, v74, v2
	v_mad_u64_u32 v[15:16], null, s3, v10, v[0:1]
	v_mov_b32_e32 v2, v4
	v_lshlrev_b64 v[10:11], 3, v[11:12]
	v_add_co_ci_u32_e32 v9, vcc_lo, v75, v3, vcc_lo
	v_add_co_u32 v3, vcc_lo, v74, v13
	v_mov_b32_e32 v7, v15
	v_lshlrev_b64 v[0:1], 3, v[1:2]
	v_add_co_ci_u32_e32 v4, vcc_lo, v75, v14, vcc_lo
	v_add_co_u32 v10, vcc_lo, v74, v10
	v_lshlrev_b64 v[5:6], 3, v[6:7]
	v_add_co_ci_u32_e32 v11, vcc_lo, v75, v11, vcc_lo
	v_add_co_u32 v0, vcc_lo, v74, v0
	v_add_co_ci_u32_e32 v1, vcc_lo, v75, v1, vcc_lo
	v_add_co_u32 v5, vcc_lo, v74, v5
	v_add_co_ci_u32_e32 v6, vcc_lo, v75, v6, vcc_lo
	global_store_dwordx2 v[8:9], v[57:58], off
	global_store_dwordx2 v[3:4], v[17:18], off
	;; [unrolled: 1-line block ×5, first 2 shown]
.LBB0_19:
	s_endpgm
	.section	.rodata,"a",@progbits
	.p2align	6, 0x0
	.amdhsa_kernel fft_rtc_fwd_len1782_factors_11_3_3_3_3_2_wgs_99_tpt_99_halfLds_sp_ip_CI_sbrr_dirReg
		.amdhsa_group_segment_fixed_size 0
		.amdhsa_private_segment_fixed_size 0
		.amdhsa_kernarg_size 88
		.amdhsa_user_sgpr_count 6
		.amdhsa_user_sgpr_private_segment_buffer 1
		.amdhsa_user_sgpr_dispatch_ptr 0
		.amdhsa_user_sgpr_queue_ptr 0
		.amdhsa_user_sgpr_kernarg_segment_ptr 1
		.amdhsa_user_sgpr_dispatch_id 0
		.amdhsa_user_sgpr_flat_scratch_init 0
		.amdhsa_user_sgpr_private_segment_size 0
		.amdhsa_wavefront_size32 1
		.amdhsa_uses_dynamic_stack 0
		.amdhsa_system_sgpr_private_segment_wavefront_offset 0
		.amdhsa_system_sgpr_workgroup_id_x 1
		.amdhsa_system_sgpr_workgroup_id_y 0
		.amdhsa_system_sgpr_workgroup_id_z 0
		.amdhsa_system_sgpr_workgroup_info 0
		.amdhsa_system_vgpr_workitem_id 0
		.amdhsa_next_free_vgpr 86
		.amdhsa_next_free_sgpr 23
		.amdhsa_reserve_vcc 1
		.amdhsa_reserve_flat_scratch 0
		.amdhsa_float_round_mode_32 0
		.amdhsa_float_round_mode_16_64 0
		.amdhsa_float_denorm_mode_32 3
		.amdhsa_float_denorm_mode_16_64 3
		.amdhsa_dx10_clamp 1
		.amdhsa_ieee_mode 1
		.amdhsa_fp16_overflow 0
		.amdhsa_workgroup_processor_mode 1
		.amdhsa_memory_ordered 1
		.amdhsa_forward_progress 0
		.amdhsa_shared_vgpr_count 0
		.amdhsa_exception_fp_ieee_invalid_op 0
		.amdhsa_exception_fp_denorm_src 0
		.amdhsa_exception_fp_ieee_div_zero 0
		.amdhsa_exception_fp_ieee_overflow 0
		.amdhsa_exception_fp_ieee_underflow 0
		.amdhsa_exception_fp_ieee_inexact 0
		.amdhsa_exception_int_div_zero 0
	.end_amdhsa_kernel
	.text
.Lfunc_end0:
	.size	fft_rtc_fwd_len1782_factors_11_3_3_3_3_2_wgs_99_tpt_99_halfLds_sp_ip_CI_sbrr_dirReg, .Lfunc_end0-fft_rtc_fwd_len1782_factors_11_3_3_3_3_2_wgs_99_tpt_99_halfLds_sp_ip_CI_sbrr_dirReg
                                        ; -- End function
	.section	.AMDGPU.csdata,"",@progbits
; Kernel info:
; codeLenInByte = 15000
; NumSgprs: 25
; NumVgprs: 86
; ScratchSize: 0
; MemoryBound: 0
; FloatMode: 240
; IeeeMode: 1
; LDSByteSize: 0 bytes/workgroup (compile time only)
; SGPRBlocks: 3
; VGPRBlocks: 10
; NumSGPRsForWavesPerEU: 25
; NumVGPRsForWavesPerEU: 86
; Occupancy: 10
; WaveLimiterHint : 1
; COMPUTE_PGM_RSRC2:SCRATCH_EN: 0
; COMPUTE_PGM_RSRC2:USER_SGPR: 6
; COMPUTE_PGM_RSRC2:TRAP_HANDLER: 0
; COMPUTE_PGM_RSRC2:TGID_X_EN: 1
; COMPUTE_PGM_RSRC2:TGID_Y_EN: 0
; COMPUTE_PGM_RSRC2:TGID_Z_EN: 0
; COMPUTE_PGM_RSRC2:TIDIG_COMP_CNT: 0
	.text
	.p2alignl 6, 3214868480
	.fill 48, 4, 3214868480
	.type	__hip_cuid_5935c2ff91d42922,@object ; @__hip_cuid_5935c2ff91d42922
	.section	.bss,"aw",@nobits
	.globl	__hip_cuid_5935c2ff91d42922
__hip_cuid_5935c2ff91d42922:
	.byte	0                               ; 0x0
	.size	__hip_cuid_5935c2ff91d42922, 1

	.ident	"AMD clang version 19.0.0git (https://github.com/RadeonOpenCompute/llvm-project roc-6.4.0 25133 c7fe45cf4b819c5991fe208aaa96edf142730f1d)"
	.section	".note.GNU-stack","",@progbits
	.addrsig
	.addrsig_sym __hip_cuid_5935c2ff91d42922
	.amdgpu_metadata
---
amdhsa.kernels:
  - .args:
      - .actual_access:  read_only
        .address_space:  global
        .offset:         0
        .size:           8
        .value_kind:     global_buffer
      - .offset:         8
        .size:           8
        .value_kind:     by_value
      - .actual_access:  read_only
        .address_space:  global
        .offset:         16
        .size:           8
        .value_kind:     global_buffer
      - .actual_access:  read_only
        .address_space:  global
        .offset:         24
        .size:           8
        .value_kind:     global_buffer
      - .offset:         32
        .size:           8
        .value_kind:     by_value
      - .actual_access:  read_only
        .address_space:  global
        .offset:         40
        .size:           8
        .value_kind:     global_buffer
      - .actual_access:  read_only
        .address_space:  global
        .offset:         48
        .size:           8
        .value_kind:     global_buffer
      - .offset:         56
        .size:           4
        .value_kind:     by_value
      - .actual_access:  read_only
        .address_space:  global
        .offset:         64
        .size:           8
        .value_kind:     global_buffer
      - .actual_access:  read_only
        .address_space:  global
        .offset:         72
        .size:           8
        .value_kind:     global_buffer
      - .address_space:  global
        .offset:         80
        .size:           8
        .value_kind:     global_buffer
    .group_segment_fixed_size: 0
    .kernarg_segment_align: 8
    .kernarg_segment_size: 88
    .language:       OpenCL C
    .language_version:
      - 2
      - 0
    .max_flat_workgroup_size: 99
    .name:           fft_rtc_fwd_len1782_factors_11_3_3_3_3_2_wgs_99_tpt_99_halfLds_sp_ip_CI_sbrr_dirReg
    .private_segment_fixed_size: 0
    .sgpr_count:     25
    .sgpr_spill_count: 0
    .symbol:         fft_rtc_fwd_len1782_factors_11_3_3_3_3_2_wgs_99_tpt_99_halfLds_sp_ip_CI_sbrr_dirReg.kd
    .uniform_work_group_size: 1
    .uses_dynamic_stack: false
    .vgpr_count:     86
    .vgpr_spill_count: 0
    .wavefront_size: 32
    .workgroup_processor_mode: 1
amdhsa.target:   amdgcn-amd-amdhsa--gfx1030
amdhsa.version:
  - 1
  - 2
...

	.end_amdgpu_metadata
